;; amdgpu-corpus repo=ROCm/rocFFT kind=compiled arch=gfx906 opt=O3
	.text
	.amdgcn_target "amdgcn-amd-amdhsa--gfx906"
	.amdhsa_code_object_version 6
	.protected	bluestein_single_fwd_len1176_dim1_sp_op_CI_CI ; -- Begin function bluestein_single_fwd_len1176_dim1_sp_op_CI_CI
	.globl	bluestein_single_fwd_len1176_dim1_sp_op_CI_CI
	.p2align	8
	.type	bluestein_single_fwd_len1176_dim1_sp_op_CI_CI,@function
bluestein_single_fwd_len1176_dim1_sp_op_CI_CI: ; @bluestein_single_fwd_len1176_dim1_sp_op_CI_CI
; %bb.0:
	s_load_dwordx4 s[8:11], s[4:5], 0x28
	v_mul_u32_u24_e32 v1, 0x493, v0
	v_add_u32_sdwa v150, s6, v1 dst_sel:DWORD dst_unused:UNUSED_PAD src0_sel:DWORD src1_sel:WORD_1
	v_mov_b32_e32 v151, 0
	s_waitcnt lgkmcnt(0)
	v_cmp_gt_u64_e32 vcc, s[8:9], v[150:151]
	s_and_saveexec_b64 s[0:1], vcc
	s_cbranch_execz .LBB0_31
; %bb.1:
	s_load_dwordx4 s[12:15], s[4:5], 0x18
	v_mov_b32_e32 v2, 56
	v_mul_lo_u16_sdwa v1, v1, v2 dst_sel:DWORD dst_unused:UNUSED_PAD src0_sel:WORD_1 src1_sel:DWORD
	v_sub_u16_e32 v169, v0, v1
	v_lshlrev_b32_e32 v167, 3, v169
	s_waitcnt lgkmcnt(0)
	s_load_dwordx4 s[0:3], s[12:13], 0x0
	v_or_b32_e32 v168, 0x1c0, v169
	s_waitcnt lgkmcnt(0)
	v_mad_u64_u32 v[0:1], s[6:7], s2, v150, 0
	v_mad_u64_u32 v[2:3], s[6:7], s0, v169, 0
	s_load_dwordx2 s[6:7], s[4:5], 0x0
	v_mad_u64_u32 v[4:5], s[2:3], s3, v150, v[1:2]
	s_waitcnt lgkmcnt(0)
	s_nop 1
	global_load_dwordx2 v[157:158], v167, s[6:7]
	v_mad_u64_u32 v[5:6], s[2:3], s1, v169, v[3:4]
	v_mov_b32_e32 v1, v4
	v_lshlrev_b64 v[0:1], 3, v[0:1]
	v_mov_b32_e32 v6, s11
	v_mov_b32_e32 v3, v5
	v_add_co_u32_e32 v36, vcc, s10, v0
	v_addc_co_u32_e32 v37, vcc, v6, v1, vcc
	v_lshlrev_b64 v[0:1], 3, v[2:3]
	s_mul_i32 s2, s1, 0x24c
	v_add_co_u32_e32 v0, vcc, v36, v0
	v_addc_co_u32_e32 v1, vcc, v37, v1, vcc
	s_mul_hi_u32 s3, s0, 0x24c
	v_mov_b32_e32 v2, s7
	v_add_co_u32_e32 v165, vcc, s6, v167
	s_add_i32 s3, s3, s2
	s_mul_i32 s2, s0, 0x24c
	v_addc_co_u32_e32 v166, vcc, 0, v2, vcc
	s_lshl_b64 s[12:13], s[2:3], 3
	v_mov_b32_e32 v42, s13
	v_add_co_u32_e32 v2, vcc, s12, v0
	v_addc_co_u32_e32 v3, vcc, v1, v42, vcc
	s_movk_i32 s2, 0x1000
	s_mul_hi_u32 s3, s0, 0xfffffdec
	global_load_dwordx2 v[4:5], v[0:1], off
	global_load_dwordx2 v[6:7], v[2:3], off
	v_add_co_u32_e32 v0, vcc, s2, v165
	s_mul_i32 s2, s1, 0xfffffdec
	s_sub_i32 s3, s3, s0
	v_addc_co_u32_e32 v1, vcc, 0, v166, vcc
	s_add_i32 s3, s3, s2
	s_mul_i32 s2, s0, 0xfffffdec
	global_load_dwordx2 v[155:156], v[0:1], off offset:608
	s_lshl_b64 s[16:17], s[2:3], 3
	v_mov_b32_e32 v40, s17
	v_add_co_u32_e32 v2, vcc, s16, v2
	v_addc_co_u32_e32 v3, vcc, v3, v40, vcc
	global_load_dwordx2 v[8:9], v[2:3], off
	global_load_dwordx2 v[153:154], v167, s[6:7] offset:448
	v_add_co_u32_e32 v2, vcc, s12, v2
	v_addc_co_u32_e32 v3, vcc, v3, v42, vcc
	v_add_co_u32_e32 v10, vcc, s16, v2
	v_addc_co_u32_e32 v11, vcc, v3, v40, vcc
	s_load_dwordx2 s[2:3], s[4:5], 0x38
	s_load_dwordx4 s[8:11], s[14:15], 0x0
	global_load_dwordx2 v[146:147], v167, s[6:7] offset:896
	global_load_dwordx2 v[140:141], v167, s[6:7] offset:1344
	global_load_dwordx2 v[159:160], v[0:1], off offset:1056
	global_load_dwordx2 v[148:149], v[0:1], off offset:1504
	;; [unrolled: 1-line block ×3, first 2 shown]
	global_load_dwordx2 v[12:13], v[2:3], off
	global_load_dwordx2 v[14:15], v[10:11], off
	v_add_co_u32_e32 v2, vcc, s12, v10
	v_addc_co_u32_e32 v3, vcc, v11, v42, vcc
	global_load_dwordx2 v[10:11], v[2:3], off
	v_add_co_u32_e32 v2, vcc, s16, v2
	v_addc_co_u32_e32 v3, vcc, v3, v40, vcc
	global_load_dwordx2 v[16:17], v[2:3], off
	v_add_co_u32_e32 v2, vcc, s12, v2
	v_addc_co_u32_e32 v3, vcc, v3, v42, vcc
	v_mad_u64_u32 v[32:33], s[14:15], s0, v168, 0
	v_mad_u64_u32 v[33:34], s[14:15], s1, v168, v[33:34]
	s_waitcnt vmcnt(13)
	v_mul_f32_e32 v18, v5, v158
	v_mul_f32_e32 v19, v4, v158
	v_fmac_f32_e32 v18, v4, v157
	v_fma_f32 v19, v5, v157, -v19
	s_waitcnt vmcnt(11)
	v_mul_f32_e32 v4, v7, v156
	v_mul_f32_e32 v5, v6, v156
	v_fmac_f32_e32 v4, v6, v155
	v_fma_f32 v5, v7, v155, -v5
	ds_write_b64 v167, v[4:5] offset:4704
	global_load_dwordx2 v[4:5], v[2:3], off
	v_add_co_u32_e32 v2, vcc, s16, v2
	s_waitcnt vmcnt(10)
	v_mul_f32_e32 v6, v9, v154
	v_mul_f32_e32 v7, v8, v154
	v_addc_co_u32_e32 v3, vcc, v3, v40, vcc
	v_fmac_f32_e32 v6, v8, v153
	v_fma_f32 v7, v9, v153, -v7
	global_load_dwordx2 v[8:9], v[2:3], off
	global_load_dwordx2 v[142:143], v167, s[6:7] offset:1792
	v_add_co_u32_e32 v2, vcc, s12, v2
	v_addc_co_u32_e32 v3, vcc, v3, v42, vcc
	global_load_dwordx2 v[20:21], v[2:3], off
	v_add_co_u32_e32 v2, vcc, s16, v2
	v_addc_co_u32_e32 v3, vcc, v3, v40, vcc
	global_load_dwordx2 v[22:23], v[2:3], off
	;; [unrolled: 3-line block ×3, first 2 shown]
	global_load_dwordx2 v[144:145], v[0:1], off offset:2400
	global_load_dwordx2 v[132:133], v[0:1], off offset:2848
	v_add_co_u32_e32 v2, vcc, s16, v2
	v_addc_co_u32_e32 v3, vcc, v3, v40, vcc
	global_load_dwordx2 v[26:27], v[2:3], off
	v_add_co_u32_e32 v2, vcc, s12, v2
	v_addc_co_u32_e32 v3, vcc, v3, v42, vcc
	global_load_dwordx2 v[28:29], v[2:3], off
	;; [unrolled: 3-line block ×3, first 2 shown]
	global_load_dwordx2 v[151:152], v167, s[6:7] offset:2240
	global_load_dwordx2 v[136:137], v167, s[6:7] offset:2688
	;; [unrolled: 1-line block ×3, first 2 shown]
	v_add_co_u32_e32 v2, vcc, s12, v2
	v_addc_co_u32_e32 v3, vcc, v3, v42, vcc
	global_load_dwordx2 v[34:35], v[2:3], off
	global_load_dwordx2 v[138:139], v[0:1], off offset:3296
	global_load_dwordx2 v[130:131], v[0:1], off offset:3744
	v_lshlrev_b64 v[0:1], 3, v[32:33]
	v_mov_b32_e32 v32, 0x1c0
	v_mad_u64_u32 v[2:3], s[14:15], s0, v32, v[2:3]
	v_add_co_u32_e32 v0, vcc, v36, v0
	s_mul_i32 s0, s1, 0x1c0
	v_addc_co_u32_e32 v1, vcc, v37, v1, vcc
	v_add_u32_e32 v3, s0, v3
	s_movk_i32 s0, 0x2000
	v_add_co_u32_e32 v38, vcc, s0, v165
	v_addc_co_u32_e32 v39, vcc, 0, v166, vcc
	global_load_dwordx2 v[32:33], v[0:1], off
	global_load_dwordx2 v[128:129], v167, s[6:7] offset:3584
	global_load_dwordx2 v[36:37], v[2:3], off
	global_load_dwordx2 v[124:125], v[38:39], off offset:96
	v_add_co_u32_e32 v0, vcc, s16, v2
	v_addc_co_u32_e32 v1, vcc, v3, v40, vcc
	global_load_dwordx2 v[40:41], v[0:1], off
	global_load_dwordx2 v[122:123], v167, s[6:7] offset:4032
	v_add_co_u32_e32 v0, vcc, s12, v0
	v_addc_co_u32_e32 v1, vcc, v1, v42, vcc
	global_load_dwordx2 v[42:43], v[0:1], off
	global_load_dwordx2 v[120:121], v[38:39], off offset:544
	ds_write2_b64 v167, v[18:19], v[6:7] offset1:56
	s_waitcnt vmcnt(28)
	v_mul_f32_e32 v6, v13, v160
	v_mul_f32_e32 v2, v12, v160
	v_fmac_f32_e32 v6, v12, v159
	v_fma_f32 v7, v13, v159, -v2
	s_waitcnt vmcnt(27)
	v_mul_f32_e32 v12, v15, v147
	v_mul_f32_e32 v2, v14, v147
	v_fmac_f32_e32 v12, v14, v146
	v_fma_f32 v13, v15, v146, -v2
	;; [unrolled: 5-line block ×3, first 2 shown]
	v_add_u32_e32 v2, 0x1000, v167
	s_waitcnt vmcnt(25)
	v_mul_f32_e32 v3, v16, v141
	ds_write2_b64 v2, v[6:7], v[14:15] offset0:132 offset1:188
	v_fma_f32 v7, v17, v140, -v3
	s_waitcnt vmcnt(24)
	v_mul_f32_e32 v3, v5, v135
	v_mul_f32_e32 v6, v17, v141
	v_fmac_f32_e32 v3, v4, v134
	v_mul_f32_e32 v4, v4, v135
	v_fmac_f32_e32 v6, v16, v140
	v_fma_f32 v4, v5, v134, -v4
	s_waitcnt vmcnt(22)
	v_mul_f32_e32 v5, v9, v143
	ds_write2_b64 v167, v[12:13], v[6:7] offset0:112 offset1:168
	v_fmac_f32_e32 v5, v8, v142
	v_mul_f32_e32 v6, v8, v143
	v_fma_f32 v6, v9, v142, -v6
	v_add_u32_e32 v9, 0x1400, v167
	v_add_u32_e32 v16, 0x1800, v167
	s_waitcnt vmcnt(18)
	v_mul_f32_e32 v7, v21, v145
	v_mul_f32_e32 v8, v20, v145
	v_fmac_f32_e32 v7, v20, v144
	v_fma_f32 v8, v21, v144, -v8
	ds_write2_b64 v9, v[3:4], v[7:8] offset0:116 offset1:172
	s_waitcnt vmcnt(17)
	v_mul_f32_e32 v4, v25, v133
	v_fmac_f32_e32 v4, v24, v132
	v_add_u32_e32 v17, 0x800, v167
	v_add_u32_e32 v10, 0x1c00, v167
	v_cmp_gt_u16_e64 s[0:1], 28, v169
	s_waitcnt vmcnt(13)
	v_mul_f32_e32 v7, v23, v152
	v_mul_f32_e32 v3, v22, v152
	v_fmac_f32_e32 v7, v22, v151
	v_fma_f32 v8, v23, v151, -v3
	v_add_u32_e32 v3, 0x400, v167
	ds_write2_b64 v3, v[5:6], v[7:8] offset0:96 offset1:152
	v_mul_f32_e32 v5, v24, v133
	s_waitcnt vmcnt(9)
	v_mul_f32_e32 v8, v29, v139
	v_mul_f32_e32 v9, v28, v139
	v_fma_f32 v5, v25, v132, -v5
	v_fmac_f32_e32 v8, v28, v138
	v_fma_f32 v9, v29, v138, -v9
	v_mul_f32_e32 v6, v27, v137
	v_mul_f32_e32 v7, v26, v137
	ds_write2_b64 v16, v[4:5], v[8:9] offset0:100 offset1:156
	v_mul_f32_e32 v4, v31, v127
	v_mul_f32_e32 v5, v30, v127
	v_fmac_f32_e32 v6, v26, v136
	v_fma_f32 v7, v27, v136, -v7
	v_fmac_f32_e32 v4, v30, v126
	v_fma_f32 v5, v31, v126, -v5
	ds_write2_b64 v17, v[6:7], v[4:5] offset0:80 offset1:136
	s_waitcnt vmcnt(8)
	v_mul_f32_e32 v4, v35, v131
	v_mul_f32_e32 v5, v34, v131
	v_fmac_f32_e32 v4, v34, v130
	s_waitcnt vmcnt(4)
	v_mul_f32_e32 v8, v37, v125
	v_mul_f32_e32 v9, v36, v125
	v_fma_f32 v5, v35, v130, -v5
	v_fmac_f32_e32 v8, v36, v124
	v_fma_f32 v9, v37, v124, -v9
	v_mul_f32_e32 v6, v33, v129
	v_mul_f32_e32 v7, v32, v129
	ds_write2_b64 v10, v[4:5], v[8:9] offset0:84 offset1:140
	s_waitcnt vmcnt(2)
	v_mul_f32_e32 v4, v41, v123
	v_mul_f32_e32 v5, v40, v123
	v_fmac_f32_e32 v6, v32, v128
	v_fma_f32 v7, v33, v128, -v7
	v_fmac_f32_e32 v4, v40, v122
	v_fma_f32 v5, v41, v122, -v5
	ds_write2_b64 v17, v[6:7], v[4:5] offset0:192 offset1:248
	s_waitcnt vmcnt(0)
	v_mul_f32_e32 v4, v43, v121
	v_mul_f32_e32 v5, v42, v121
	v_fmac_f32_e32 v4, v42, v120
	v_fma_f32 v5, v43, v120, -v5
	ds_write_b64 v167, v[4:5] offset:8736
	s_and_saveexec_b64 s[14:15], s[0:1]
	s_cbranch_execz .LBB0_3
; %bb.2:
	v_mov_b32_e32 v4, s17
	v_add_co_u32_e32 v0, vcc, s16, v0
	v_addc_co_u32_e32 v1, vcc, v1, v4, vcc
	v_add_co_u32_e32 v6, vcc, 0x1000, v165
	v_addc_co_u32_e32 v7, vcc, 0, v166, vcc
	global_load_dwordx2 v[4:5], v[0:1], off
	v_mov_b32_e32 v8, s13
	v_add_co_u32_e32 v0, vcc, s12, v0
	v_addc_co_u32_e32 v1, vcc, v1, v8, vcc
	v_add_co_u32_e32 v8, vcc, 0x2000, v165
	global_load_dwordx2 v[6:7], v[6:7], off offset:384
	v_addc_co_u32_e32 v9, vcc, 0, v166, vcc
	global_load_dwordx2 v[8:9], v[8:9], off offset:992
	s_waitcnt vmcnt(1)
	v_mul_f32_e32 v10, v5, v7
	global_load_dwordx2 v[0:1], v[0:1], off
	v_mul_f32_e32 v7, v4, v7
	v_fmac_f32_e32 v10, v4, v6
	v_fma_f32 v11, v5, v6, -v7
	ds_write_b64 v167, v[10:11] offset:4480
	s_waitcnt vmcnt(0)
	v_mul_f32_e32 v4, v1, v9
	v_mul_f32_e32 v5, v0, v9
	v_fmac_f32_e32 v4, v0, v8
	v_fma_f32 v5, v1, v8, -v5
	ds_write_b64 v167, v[4:5] offset:9184
.LBB0_3:
	s_or_b64 exec, exec, s[14:15]
	s_waitcnt lgkmcnt(0)
	; wave barrier
	s_waitcnt lgkmcnt(0)
	ds_read2_b64 v[24:27], v167 offset1:56
	ds_read2_b64 v[36:39], v2 offset0:76 offset1:132
	ds_read2_b64 v[12:15], v167 offset0:112 offset1:168
	;; [unrolled: 1-line block ×8, first 2 shown]
	v_add_u32_e32 v16, 0x2000, v167
	ds_read2_b64 v[16:19], v16 offset0:12 offset1:68
                                        ; implicit-def: $vgpr42
                                        ; implicit-def: $vgpr40
	s_and_saveexec_b64 s[12:13], s[0:1]
	s_cbranch_execz .LBB0_5
; %bb.4:
	ds_read_b64 v[40:41], v167 offset:4480
	ds_read_b64 v[42:43], v167 offset:9184
.LBB0_5:
	s_or_b64 exec, exec, s[12:13]
	s_movk_i32 s12, 0xe0
	s_load_dwordx2 s[4:5], s[4:5], 0x8
	v_add_co_u32_e32 v48, vcc, s12, v169
	s_movk_i32 s12, 0x118
	v_add_co_u32_e32 v47, vcc, s12, v169
	s_movk_i32 s12, 0x150
	s_waitcnt lgkmcnt(0)
	v_sub_f32_e32 v38, v26, v38
	v_sub_f32_e32 v39, v27, v39
	;; [unrolled: 1-line block ×6, first 2 shown]
	v_add_co_u32_e32 v45, vcc, 56, v169
	v_add_co_u32_e32 v44, vcc, 0x70, v169
	;; [unrolled: 1-line block ×4, first 2 shown]
	s_movk_i32 s12, 0x230
	v_sub_f32_e32 v53, v24, v36
	v_sub_f32_e32 v54, v25, v37
	v_fma_f32 v36, v26, 2.0, -v38
	v_fma_f32 v37, v27, 2.0, -v39
	v_sub_f32_e32 v26, v12, v32
	v_sub_f32_e32 v27, v13, v33
	v_fma_f32 v32, v14, 2.0, -v34
	v_fma_f32 v33, v15, 2.0, -v35
	;; [unrolled: 4-line block ×3, first 2 shown]
	v_sub_f32_e32 v10, v4, v20
	v_sub_f32_e32 v11, v5, v21
	;; [unrolled: 1-line block ×6, first 2 shown]
	v_lshlrev_b32_e32 v50, 1, v169
	v_add_co_u32_e32 v58, vcc, s12, v169
	v_fma_f32 v51, v24, 2.0, -v53
	v_fma_f32 v52, v25, 2.0, -v54
	;; [unrolled: 1-line block ×10, first 2 shown]
	v_sub_f32_e32 v6, v0, v16
	v_sub_f32_e32 v7, v1, v17
	v_fma_f32 v16, v2, 2.0, -v18
	v_fma_f32 v17, v3, 2.0, -v19
	v_sub_f32_e32 v2, v40, v42
	v_sub_f32_e32 v3, v41, v43
	v_lshlrev_b32_e32 v173, 4, v169
	v_lshlrev_b32_e32 v174, 4, v45
	;; [unrolled: 1-line block ×7, first 2 shown]
	v_fma_f32 v4, v0, 2.0, -v6
	v_fma_f32 v5, v1, 2.0, -v7
	;; [unrolled: 1-line block ×4, first 2 shown]
	s_waitcnt lgkmcnt(0)
	; wave barrier
	ds_write_b128 v173, v[51:54]
	v_lshlrev_b32_e32 v57, 1, v45
	ds_write_b128 v174, v[36:39]
	v_lshlrev_b32_e32 v55, 1, v44
	;; [unrolled: 2-line block ×6, first 2 shown]
	ds_write_b128 v179, v[8:11]
	v_add_u32_e32 v192, 0x310, v50
	v_lshlrev_b32_e32 v8, 3, v50
	v_lshlrev_b32_e32 v53, 1, v168
	;; [unrolled: 1-line block ×3, first 2 shown]
	v_add_u32_e32 v193, 0x3f0, v50
	v_lshlrev_b32_e32 v180, 4, v58
	ds_write_b128 v8, v[20:23] offset:6272
	ds_write_b128 v181, v[4:7]
	ds_write_b128 v8, v[16:19] offset:8064
	s_and_saveexec_b64 s[12:13], s[0:1]
	s_cbranch_execz .LBB0_7
; %bb.6:
	ds_write_b128 v180, v[0:3]
.LBB0_7:
	s_or_b64 exec, exec, s[12:13]
	v_add_u32_e32 v4, 0x1000, v167
	s_waitcnt lgkmcnt(0)
	; wave barrier
	s_waitcnt lgkmcnt(0)
	ds_read2_b64 v[20:23], v167 offset1:56
	ds_read2_b64 v[40:43], v4 offset0:76 offset1:132
	ds_read2_b64 v[16:19], v167 offset0:112 offset1:168
	;; [unrolled: 1-line block ×3, first 2 shown]
	v_add_u32_e32 v4, 0x400, v167
	ds_read2_b64 v[12:15], v4 offset0:96 offset1:152
	v_add_u32_e32 v4, 0x1800, v167
	v_add_u32_e32 v5, 0x800, v167
	ds_read2_b64 v[32:35], v4 offset0:44 offset1:100
	ds_read2_b64 v[8:11], v5 offset0:80 offset1:136
	ds_read2_b64 v[28:31], v4 offset0:156 offset1:212
	ds_read2_b64 v[4:7], v5 offset0:192 offset1:248
	v_add_u32_e32 v24, 0x2000, v167
	ds_read2_b64 v[24:27], v24 offset0:12 offset1:68
	s_and_saveexec_b64 s[12:13], s[0:1]
	s_cbranch_execz .LBB0_9
; %bb.8:
	ds_read_b64 v[0:1], v167 offset:4480
	ds_read_b64 v[2:3], v167 offset:9184
.LBB0_9:
	s_or_b64 exec, exec, s[12:13]
	v_and_b32_e32 v170, 1, v169
	v_lshlrev_b32_e32 v59, 3, v170
	global_load_dwordx2 v[161:162], v59, s[4:5]
	s_movk_i32 s12, 0x7c
	s_movk_i32 s13, 0x2fc
	v_lshlrev_b32_e32 v171, 1, v58
	s_waitcnt lgkmcnt(0)
	; wave barrier
	s_waitcnt vmcnt(0) lgkmcnt(0)
	v_mul_f32_e32 v59, v41, v162
	v_fma_f32 v59, v40, v161, -v59
	v_mul_f32_e32 v40, v40, v162
	v_fmac_f32_e32 v40, v41, v161
	v_mul_f32_e32 v41, v43, v162
	v_fma_f32 v41, v42, v161, -v41
	v_mul_f32_e32 v42, v42, v162
	v_fmac_f32_e32 v42, v43, v161
	;; [unrolled: 4-line block ×6, first 2 shown]
	v_mul_f32_e32 v35, v29, v162
	v_fma_f32 v35, v28, v161, -v35
	v_mul_f32_e32 v60, v28, v162
	v_mul_f32_e32 v28, v31, v162
	v_fma_f32 v61, v30, v161, -v28
	v_mul_f32_e32 v28, v25, v162
	v_fma_f32 v63, v24, v161, -v28
	v_mul_f32_e32 v64, v24, v162
	v_mul_f32_e32 v24, v27, v162
	v_fma_f32 v65, v26, v161, -v24
	v_mul_f32_e32 v24, v3, v162
	v_fma_f32 v67, v2, v161, -v24
	v_fmac_f32_e32 v64, v25, v161
	v_mul_f32_e32 v68, v2, v162
	v_sub_f32_e32 v25, v23, v42
	v_sub_f32_e32 v42, v0, v67
	v_fmac_f32_e32 v68, v3, v161
	v_sub_f32_e32 v3, v21, v40
	v_fma_f32 v40, v0, 2.0, -v42
	v_and_or_b32 v0, v50, s12, v170
	s_movk_i32 s12, 0xfc
	v_lshlrev_b32_e32 v182, 3, v0
	v_and_or_b32 v0, v57, s12, v170
	s_movk_i32 s12, 0x1fc
	v_lshlrev_b32_e32 v183, 3, v0
	v_and_or_b32 v0, v55, s12, v170
	v_lshlrev_b32_e32 v184, 3, v0
	v_and_or_b32 v0, v56, s12, v170
	s_movk_i32 s12, 0x3fc
	v_lshlrev_b32_e32 v185, 3, v0
	v_and_or_b32 v0, v54, s12, v170
	v_lshlrev_b32_e32 v186, 3, v0
	v_and_or_b32 v0, v51, s13, v170
	v_lshlrev_b32_e32 v187, 3, v0
	v_and_or_b32 v0, v52, s12, v170
	v_mul_f32_e32 v62, v30, v162
	v_mul_f32_e32 v66, v26, v162
	v_lshlrev_b32_e32 v188, 3, v0
	v_and_or_b32 v0, v192, s12, v170
	v_fmac_f32_e32 v60, v29, v161
	v_fmac_f32_e32 v62, v31, v161
	;; [unrolled: 1-line block ×3, first 2 shown]
	v_lshlrev_b32_e32 v189, 3, v0
	v_and_or_b32 v0, v53, s12, v170
	s_movk_i32 s12, 0x7fc
	v_sub_f32_e32 v2, v20, v59
	v_sub_f32_e32 v24, v22, v41
	;; [unrolled: 1-line block ×19, first 2 shown]
	v_lshlrev_b32_e32 v190, 3, v0
	v_and_or_b32 v0, v193, s12, v170
	v_fma_f32 v20, v20, 2.0, -v2
	v_fma_f32 v21, v21, 2.0, -v3
	;; [unrolled: 1-line block ×21, first 2 shown]
	v_lshlrev_b32_e32 v191, 3, v0
	ds_write2_b64 v182, v[20:21], v[2:3] offset1:2
	ds_write2_b64 v183, v[22:23], v[24:25] offset1:2
	;; [unrolled: 1-line block ×10, first 2 shown]
	s_and_saveexec_b64 s[12:13], s[0:1]
	s_cbranch_execz .LBB0_11
; %bb.10:
	s_movk_i32 s14, 0x4fc
	v_and_or_b32 v0, v171, s14, v170
	v_lshlrev_b32_e32 v0, 3, v0
	ds_write2_b64 v0, v[40:41], v[42:43] offset1:2
.LBB0_11:
	s_or_b64 exec, exec, s[12:13]
	v_add_u32_e32 v8, 0x1000, v167
	s_waitcnt lgkmcnt(0)
	; wave barrier
	s_waitcnt lgkmcnt(0)
	ds_read2_b64 v[0:3], v167 offset1:56
	ds_read2_b64 v[20:23], v8 offset0:76 offset1:132
	ds_read2_b64 v[4:7], v167 offset0:112 offset1:168
	;; [unrolled: 1-line block ×3, first 2 shown]
	v_add_u32_e32 v8, 0x400, v167
	v_add_u32_e32 v16, 0x1800, v167
	;; [unrolled: 1-line block ×3, first 2 shown]
	ds_read2_b64 v[8:11], v8 offset0:96 offset1:152
	ds_read2_b64 v[28:31], v16 offset0:44 offset1:100
	;; [unrolled: 1-line block ×5, first 2 shown]
	v_add_u32_e32 v36, 0x2000, v167
	ds_read2_b64 v[36:39], v36 offset0:12 offset1:68
	s_and_saveexec_b64 s[12:13], s[0:1]
	s_cbranch_execz .LBB0_13
; %bb.12:
	ds_read_b64 v[40:41], v167 offset:4480
	ds_read_b64 v[42:43], v167 offset:9184
.LBB0_13:
	s_or_b64 exec, exec, s[12:13]
	v_and_b32_e32 v172, 3, v169
	v_lshlrev_b32_e32 v58, 3, v172
	global_load_dwordx2 v[163:164], v58, s[4:5] offset:16
	s_movk_i32 s12, 0x78
	s_waitcnt lgkmcnt(0)
	; wave barrier
	s_waitcnt lgkmcnt(0)
	s_movk_i32 s13, 0x2f8
	s_waitcnt vmcnt(0)
	v_mul_f32_e32 v58, v21, v164
	v_mul_f32_e32 v59, v20, v164
	;; [unrolled: 1-line block ×4, first 2 shown]
	v_fma_f32 v20, v20, v163, -v58
	v_fmac_f32_e32 v59, v21, v163
	v_fma_f32 v42, v42, v163, -v78
	v_sub_f32_e32 v20, v0, v20
	v_sub_f32_e32 v21, v1, v59
	;; [unrolled: 1-line block ×3, first 2 shown]
	v_and_or_b32 v42, v50, s12, v172
	v_fma_f32 v0, v0, 2.0, -v20
	v_fma_f32 v1, v1, 2.0, -v21
	v_lshlrev_b32_e32 v194, 3, v42
	s_movk_i32 s12, 0xf8
	ds_write2_b64 v194, v[0:1], v[20:21] offset1:4
	v_and_or_b32 v0, v57, s12, v172
	s_movk_i32 s12, 0x1f8
	v_lshlrev_b32_e32 v195, 3, v0
	v_and_or_b32 v0, v55, s12, v172
	v_lshlrev_b32_e32 v196, 3, v0
	v_and_or_b32 v0, v56, s12, v172
	s_movk_i32 s12, 0x3f8
	v_lshlrev_b32_e32 v197, 3, v0
	v_and_or_b32 v0, v54, s12, v172
	v_lshlrev_b32_e32 v198, 3, v0
	v_and_or_b32 v0, v51, s13, v172
	;; [unrolled: 2-line block ×3, first 2 shown]
	v_mul_f32_e32 v60, v23, v164
	v_mul_f32_e32 v61, v22, v164
	;; [unrolled: 1-line block ×18, first 2 shown]
	v_lshlrev_b32_e32 v200, 3, v0
	v_and_or_b32 v0, v192, s12, v172
	v_fma_f32 v22, v22, v163, -v60
	v_fmac_f32_e32 v61, v23, v163
	v_fma_f32 v24, v24, v163, -v62
	v_fmac_f32_e32 v63, v25, v163
	;; [unrolled: 2-line block ×9, first 2 shown]
	v_lshlrev_b32_e32 v201, 3, v0
	v_and_or_b32 v0, v53, s12, v172
	s_movk_i32 s12, 0x7f8
	v_fmac_f32_e32 v79, v43, v163
	v_sub_f32_e32 v22, v2, v22
	v_sub_f32_e32 v23, v3, v61
	;; [unrolled: 1-line block ×18, first 2 shown]
	v_lshlrev_b32_e32 v202, 3, v0
	v_and_or_b32 v0, v193, s12, v172
	v_fma_f32 v2, v2, 2.0, -v22
	v_fma_f32 v3, v3, 2.0, -v23
	v_fma_f32 v4, v4, 2.0, -v24
	v_fma_f32 v5, v5, 2.0, -v25
	v_fma_f32 v6, v6, 2.0, -v26
	v_fma_f32 v7, v7, 2.0, -v27
	v_fma_f32 v8, v8, 2.0, -v28
	v_fma_f32 v9, v9, 2.0, -v29
	v_fma_f32 v10, v10, 2.0, -v30
	v_fma_f32 v11, v11, 2.0, -v31
	v_fma_f32 v12, v12, 2.0, -v32
	v_fma_f32 v13, v13, 2.0, -v33
	v_fma_f32 v14, v14, 2.0, -v34
	v_fma_f32 v15, v15, 2.0, -v35
	v_fma_f32 v16, v16, 2.0, -v36
	v_fma_f32 v17, v17, 2.0, -v37
	v_fma_f32 v18, v18, 2.0, -v38
	v_fma_f32 v19, v19, 2.0, -v39
	v_sub_f32_e32 v117, v41, v79
	v_lshlrev_b32_e32 v203, 3, v0
	ds_write2_b64 v195, v[2:3], v[22:23] offset1:4
	ds_write2_b64 v196, v[4:5], v[24:25] offset1:4
	;; [unrolled: 1-line block ×9, first 2 shown]
	s_and_saveexec_b64 s[12:13], s[0:1]
	s_cbranch_execz .LBB0_15
; %bb.14:
	s_movk_i32 s14, 0x4f8
	v_and_or_b32 v2, v171, s14, v172
	v_fma_f32 v1, v41, 2.0, -v117
	v_fma_f32 v0, v40, 2.0, -v116
	v_lshlrev_b32_e32 v2, 3, v2
	ds_write2_b64 v2, v[0:1], v[116:117] offset1:4
.LBB0_15:
	s_or_b64 exec, exec, s[12:13]
	v_and_b32_e32 v52, 7, v169
	v_lshlrev_b32_e32 v0, 4, v52
	s_waitcnt lgkmcnt(0)
	; wave barrier
	s_waitcnt lgkmcnt(0)
	global_load_dwordx4 v[0:3], v0, s[4:5] offset:48
	ds_read2_b64 v[4:7], v167 offset1:56
	v_add_u32_e32 v78, 0x800, v167
	v_add_u32_e32 v79, 0x1800, v167
	ds_read2_b64 v[8:11], v167 offset0:112 offset1:168
	v_add_u32_e32 v81, 0x1000, v167
	v_add_u32_e32 v80, 0x400, v167
	;; [unrolled: 1-line block ×3, first 2 shown]
	ds_read_b64 v[50:51], v167 offset:8960
	ds_read2_b64 v[12:15], v78 offset0:80 offset1:136
	ds_read2_b64 v[16:19], v79 offset0:16 offset1:72
	;; [unrolled: 1-line block ×8, first 2 shown]
	s_waitcnt lgkmcnt(0)
	; wave barrier
	s_waitcnt lgkmcnt(0)
	s_movk_i32 s14, 0xab
	s_mov_b32 s15, 0xbeae86e6
	s_waitcnt vmcnt(0)
	v_mul_f32_e32 v53, v15, v1
	v_mul_f32_e32 v55, v17, v3
	;; [unrolled: 1-line block ×4, first 2 shown]
	v_fma_f32 v53, v14, v0, -v53
	v_fma_f32 v55, v16, v2, -v55
	v_mul_f32_e32 v58, v20, v1
	v_mul_f32_e32 v59, v19, v3
	v_fmac_f32_e32 v54, v15, v0
	v_fmac_f32_e32 v56, v17, v2
	v_add_f32_e32 v15, v53, v55
	v_mul_f32_e32 v57, v21, v1
	v_mul_f32_e32 v60, v18, v3
	v_fmac_f32_e32 v58, v21, v0
	v_fma_f32 v21, v18, v2, -v59
	v_add_f32_e32 v14, v4, v53
	v_add_f32_e32 v16, v5, v54
	;; [unrolled: 1-line block ×3, first 2 shown]
	v_fma_f32 v4, -0.5, v15, v4
	v_fma_f32 v57, v20, v0, -v57
	v_sub_f32_e32 v17, v54, v56
	v_add_f32_e32 v15, v16, v56
	v_mov_b32_e32 v16, v4
	v_fma_f32 v5, -0.5, v18, v5
	v_fmac_f32_e32 v60, v19, v2
	v_fmac_f32_e32 v4, 0xbf5db3d7, v17
	v_fmac_f32_e32 v16, 0x3f5db3d7, v17
	v_sub_f32_e32 v18, v53, v55
	v_mov_b32_e32 v17, v5
	v_add_f32_e32 v19, v57, v21
	v_mul_f32_e32 v61, v23, v1
	v_fmac_f32_e32 v17, 0xbf5db3d7, v18
	v_fmac_f32_e32 v5, 0x3f5db3d7, v18
	v_add_f32_e32 v18, v6, v57
	v_fma_f32 v6, -0.5, v19, v6
	v_mul_f32_e32 v62, v22, v1
	v_mul_f32_e32 v63, v25, v3
	v_fma_f32 v59, v22, v0, -v61
	v_sub_f32_e32 v19, v58, v60
	v_mov_b32_e32 v20, v6
	v_add_f32_e32 v22, v58, v60
	v_fma_f32 v61, v24, v2, -v63
	v_fmac_f32_e32 v20, 0x3f5db3d7, v19
	v_fmac_f32_e32 v6, 0xbf5db3d7, v19
	v_add_f32_e32 v19, v7, v58
	v_fmac_f32_e32 v7, -0.5, v22
	v_mul_f32_e32 v64, v24, v3
	v_fmac_f32_e32 v62, v23, v0
	v_add_f32_e32 v18, v18, v21
	v_sub_f32_e32 v22, v57, v21
	v_mov_b32_e32 v21, v7
	v_add_f32_e32 v23, v59, v61
	v_fmac_f32_e32 v64, v25, v2
	v_fmac_f32_e32 v21, 0xbf5db3d7, v22
	v_fmac_f32_e32 v7, 0x3f5db3d7, v22
	v_add_f32_e32 v22, v8, v59
	v_fma_f32 v8, -0.5, v23, v8
	v_mul_f32_e32 v65, v29, v1
	v_mul_f32_e32 v66, v28, v1
	;; [unrolled: 1-line block ×3, first 2 shown]
	v_sub_f32_e32 v23, v62, v64
	v_mov_b32_e32 v24, v8
	v_add_f32_e32 v25, v62, v64
	v_mul_f32_e32 v68, v26, v3
	v_fma_f32 v63, v28, v0, -v65
	v_fmac_f32_e32 v66, v29, v0
	v_fma_f32 v29, v26, v2, -v67
	v_fmac_f32_e32 v24, 0x3f5db3d7, v23
	v_fmac_f32_e32 v8, 0xbf5db3d7, v23
	v_add_f32_e32 v23, v9, v62
	v_fma_f32 v9, -0.5, v25, v9
	v_fmac_f32_e32 v68, v27, v2
	v_sub_f32_e32 v26, v59, v61
	v_mov_b32_e32 v25, v9
	v_add_f32_e32 v27, v63, v29
	v_mul_f32_e32 v69, v31, v1
	v_fmac_f32_e32 v25, 0xbf5db3d7, v26
	v_fmac_f32_e32 v9, 0x3f5db3d7, v26
	v_add_f32_e32 v26, v10, v63
	v_fma_f32 v10, -0.5, v27, v10
	v_mul_f32_e32 v70, v30, v1
	v_mul_f32_e32 v71, v37, v3
	v_fma_f32 v65, v30, v0, -v69
	v_sub_f32_e32 v27, v66, v68
	v_mov_b32_e32 v28, v10
	v_add_f32_e32 v30, v66, v68
	v_fma_f32 v67, v36, v2, -v71
	v_fmac_f32_e32 v28, 0x3f5db3d7, v27
	v_fmac_f32_e32 v10, 0xbf5db3d7, v27
	v_add_f32_e32 v27, v11, v66
	v_fmac_f32_e32 v11, -0.5, v30
	v_mul_f32_e32 v72, v36, v3
	v_fmac_f32_e32 v70, v31, v0
	v_add_f32_e32 v26, v26, v29
	v_sub_f32_e32 v30, v63, v29
	v_mov_b32_e32 v29, v11
	v_add_f32_e32 v31, v65, v67
	v_fmac_f32_e32 v72, v37, v2
	v_fmac_f32_e32 v29, 0xbf5db3d7, v30
	;; [unrolled: 1-line block ×3, first 2 shown]
	v_add_f32_e32 v30, v32, v65
	v_fma_f32 v32, -0.5, v31, v32
	v_mul_f32_e32 v73, v41, v1
	v_mul_f32_e32 v74, v40, v1
	;; [unrolled: 1-line block ×3, first 2 shown]
	v_sub_f32_e32 v31, v70, v72
	v_mov_b32_e32 v36, v32
	v_add_f32_e32 v37, v70, v72
	v_mul_f32_e32 v76, v38, v3
	v_fma_f32 v69, v40, v0, -v73
	v_fmac_f32_e32 v74, v41, v0
	v_fma_f32 v41, v38, v2, -v75
	v_fmac_f32_e32 v36, 0x3f5db3d7, v31
	v_fmac_f32_e32 v32, 0xbf5db3d7, v31
	v_add_f32_e32 v31, v33, v70
	v_fma_f32 v33, -0.5, v37, v33
	v_fmac_f32_e32 v76, v39, v2
	v_sub_f32_e32 v38, v65, v67
	v_mov_b32_e32 v37, v33
	v_add_f32_e32 v39, v69, v41
	v_mul_f32_e32 v77, v43, v1
	v_fmac_f32_e32 v37, 0xbf5db3d7, v38
	v_fmac_f32_e32 v33, 0x3f5db3d7, v38
	v_add_f32_e32 v38, v34, v69
	v_fma_f32 v34, -0.5, v39, v34
	v_mul_f32_e32 v83, v42, v1
	v_mul_f32_e32 v84, v51, v3
	v_fma_f32 v71, v42, v0, -v77
	v_sub_f32_e32 v39, v74, v76
	v_mov_b32_e32 v40, v34
	v_add_f32_e32 v42, v74, v76
	v_fma_f32 v73, v50, v2, -v84
	v_fmac_f32_e32 v40, 0x3f5db3d7, v39
	v_fmac_f32_e32 v34, 0xbf5db3d7, v39
	v_add_f32_e32 v39, v35, v74
	v_fmac_f32_e32 v35, -0.5, v42
	v_mul_f32_e32 v85, v50, v3
	v_fmac_f32_e32 v83, v43, v0
	v_add_f32_e32 v38, v38, v41
	v_sub_f32_e32 v42, v69, v41
	v_mov_b32_e32 v41, v35
	v_add_f32_e32 v43, v71, v73
	v_fmac_f32_e32 v85, v51, v2
	v_fmac_f32_e32 v41, 0xbf5db3d7, v42
	;; [unrolled: 1-line block ×3, first 2 shown]
	v_add_f32_e32 v42, v12, v71
	v_fma_f32 v12, -0.5, v43, v12
	v_sub_f32_e32 v43, v83, v85
	v_mov_b32_e32 v50, v12
	v_add_f32_e32 v51, v83, v85
	v_fmac_f32_e32 v50, 0x3f5db3d7, v43
	v_fmac_f32_e32 v12, 0xbf5db3d7, v43
	v_add_f32_e32 v43, v13, v83
	v_fmac_f32_e32 v13, -0.5, v51
	v_sub_f32_e32 v53, v71, v73
	v_mov_b32_e32 v51, v13
	v_fmac_f32_e32 v51, 0xbf5db3d7, v53
	v_fmac_f32_e32 v13, 0x3f5db3d7, v53
	v_lshrrev_b32_e32 v53, 3, v169
	v_mul_u32_u24_e32 v53, 24, v53
	v_or_b32_e32 v53, v53, v52
	v_add_f32_e32 v14, v14, v55
	v_lshlrev_b32_e32 v204, 3, v53
	ds_write2_b64 v204, v[14:15], v[16:17] offset1:8
	ds_write_b64 v204, v[4:5] offset:128
	v_lshrrev_b32_e32 v4, 3, v45
	v_mul_u32_u24_e32 v4, 24, v4
	v_or_b32_e32 v4, v4, v52
	v_lshlrev_b32_e32 v205, 3, v4
	v_lshrrev_b32_e32 v4, 3, v44
	v_mul_u32_u24_e32 v4, 24, v4
	v_or_b32_e32 v4, v4, v52
	v_lshlrev_b32_e32 v206, 3, v4
	;; [unrolled: 4-line block ×6, first 2 shown]
	v_mul_lo_u16_sdwa v4, v169, s14 dst_sel:DWORD dst_unused:UNUSED_PAD src0_sel:BYTE_0 src1_sel:DWORD
	v_lshrrev_b16_e32 v87, 12, v4
	v_mul_lo_u16_e32 v4, 24, v87
	v_sub_u16_e32 v4, v169, v4
	v_add_f32_e32 v19, v19, v60
	v_add_f32_e32 v22, v22, v61
	;; [unrolled: 1-line block ×3, first 2 shown]
	v_and_b32_e32 v88, 0xff, v4
	ds_write2_b64 v205, v[18:19], v[20:21] offset1:8
	ds_write_b64 v205, v[6:7] offset:128
	ds_write2_b64 v206, v[22:23], v[24:25] offset1:8
	ds_write_b64 v206, v[8:9] offset:128
	v_mad_u64_u32 v[8:9], s[12:13], v88, 48, s[4:5]
	v_add_f32_e32 v27, v27, v68
	v_add_f32_e32 v30, v30, v67
	;; [unrolled: 1-line block ×6, first 2 shown]
	ds_write2_b64 v207, v[26:27], v[28:29] offset1:8
	ds_write_b64 v207, v[10:11] offset:128
	ds_write2_b64 v208, v[30:31], v[36:37] offset1:8
	ds_write_b64 v208, v[32:33] offset:128
	;; [unrolled: 2-line block ×4, first 2 shown]
	s_waitcnt lgkmcnt(0)
	; wave barrier
	s_waitcnt lgkmcnt(0)
	global_load_dwordx4 v[12:15], v[8:9], off offset:176
	global_load_dwordx4 v[4:7], v[8:9], off offset:192
	v_mul_lo_u16_sdwa v10, v45, s14 dst_sel:DWORD dst_unused:UNUSED_PAD src0_sel:BYTE_0 src1_sel:DWORD
	v_lshrrev_b16_e32 v89, 12, v10
	v_mul_lo_u16_e32 v10, 24, v89
	global_load_dwordx4 v[32:35], v[8:9], off offset:208
	v_sub_u16_e32 v8, v45, v10
	v_and_b32_e32 v90, 0xff, v8
	v_mad_u64_u32 v[8:9], s[12:13], v90, 48, s[4:5]
	v_mul_lo_u16_sdwa v20, v44, s14 dst_sel:DWORD dst_unused:UNUSED_PAD src0_sel:BYTE_0 src1_sel:DWORD
	v_lshrrev_b16_e32 v91, 12, v20
	global_load_dwordx4 v[24:27], v[8:9], off offset:176
	global_load_dwordx4 v[16:19], v[8:9], off offset:192
	s_nop 0
	global_load_dwordx4 v[8:11], v[8:9], off offset:208
	v_mul_lo_u16_e32 v20, 24, v91
	v_sub_u16_e32 v20, v44, v20
	v_and_b32_e32 v92, 0xff, v20
	v_mad_u64_u32 v[20:21], s[12:13], v92, 48, s[4:5]
	global_load_dwordx4 v[36:39], v[20:21], off offset:176
	global_load_dwordx4 v[28:31], v[20:21], off offset:192
	s_nop 0
	global_load_dwordx4 v[20:23], v[20:21], off offset:208
	ds_read2_b64 v[40:43], v167 offset1:56
	ds_read2_b64 v[44:47], v167 offset0:112 offset1:168
	ds_read2_b64 v[48:51], v78 offset0:80 offset1:136
	;; [unrolled: 1-line block ×9, first 2 shown]
	ds_read_b64 v[76:77], v167 offset:8960
	s_mov_b32 s12, 0x3f5ff5aa
	s_mov_b32 s14, 0x3f3bfb3b
	;; [unrolled: 1-line block ×3, first 2 shown]
	v_mul_u32_u24_e32 v87, 0xa8, v87
	v_add_lshl_u32 v211, v87, v88, 3
	s_waitcnt lgkmcnt(0)
	; wave barrier
	s_waitcnt vmcnt(8) lgkmcnt(0)
	v_mul_f32_e32 v93, v47, v13
	v_fma_f32 v93, v46, v12, -v93
	v_mul_f32_e32 v46, v46, v13
	v_fmac_f32_e32 v46, v47, v12
	v_mul_f32_e32 v47, v49, v15
	v_fma_f32 v47, v48, v14, -v47
	v_mul_f32_e32 v48, v48, v15
	v_fmac_f32_e32 v48, v49, v14
	s_waitcnt vmcnt(7)
	v_mul_f32_e32 v49, v55, v5
	v_fma_f32 v49, v54, v4, -v49
	v_mul_f32_e32 v54, v54, v5
	v_fmac_f32_e32 v54, v55, v4
	v_mul_f32_e32 v55, v57, v7
	v_fma_f32 v55, v56, v6, -v55
	v_mul_f32_e32 v56, v56, v7
	v_fmac_f32_e32 v56, v57, v6
	s_waitcnt vmcnt(6)
	v_mul_f32_e32 v57, v63, v33
	v_fma_f32 v57, v62, v32, -v57
	v_mul_f32_e32 v62, v62, v33
	v_fmac_f32_e32 v62, v63, v32
	v_mul_f32_e32 v63, v65, v35
	v_fma_f32 v63, v64, v34, -v63
	v_mul_f32_e32 v64, v64, v35
	v_fmac_f32_e32 v64, v65, v34
	s_waitcnt vmcnt(5)
	v_mul_f32_e32 v65, v69, v25
	v_fma_f32 v65, v68, v24, -v65
	v_mul_f32_e32 v68, v68, v25
	v_fmac_f32_e32 v68, v69, v24
	v_mul_f32_e32 v69, v51, v27
	v_fma_f32 v69, v50, v26, -v69
	v_mul_f32_e32 v94, v50, v27
	s_waitcnt vmcnt(4)
	v_mul_f32_e32 v50, v73, v17
	v_fma_f32 v95, v72, v16, -v50
	v_mul_f32_e32 v72, v72, v17
	v_mul_f32_e32 v50, v59, v19
	v_fmac_f32_e32 v72, v73, v16
	v_fma_f32 v73, v58, v18, -v50
	v_mul_f32_e32 v58, v58, v19
	s_waitcnt vmcnt(3)
	v_mul_f32_e32 v50, v84, v9
	v_fmac_f32_e32 v58, v59, v18
	v_fma_f32 v59, v83, v8, -v50
	v_mul_f32_e32 v83, v83, v9
	v_mul_f32_e32 v50, v67, v11
	v_fmac_f32_e32 v83, v84, v8
	v_fma_f32 v84, v66, v10, -v50
	s_waitcnt vmcnt(2)
	v_mul_f32_e32 v50, v71, v37
	v_fma_f32 v96, v70, v36, -v50
	v_mul_f32_e32 v70, v70, v37
	v_mul_f32_e32 v50, v53, v39
	v_fmac_f32_e32 v70, v71, v36
	v_fma_f32 v71, v52, v38, -v50
	s_waitcnt vmcnt(1)
	v_mul_f32_e32 v50, v75, v29
	;; [unrolled: 7-line block ×3, first 2 shown]
	v_mul_f32_e32 v97, v52, v39
	v_fma_f32 v100, v85, v20, -v50
	v_mul_f32_e32 v85, v85, v21
	v_mul_f32_e32 v50, v77, v23
	v_fmac_f32_e32 v97, v53, v38
	v_fmac_f32_e32 v85, v86, v20
	v_fma_f32 v86, v76, v22, -v50
	v_add_f32_e32 v50, v93, v63
	v_add_f32_e32 v53, v47, v57
	v_fmac_f32_e32 v94, v51, v26
	v_mul_f32_e32 v99, v60, v31
	v_add_f32_e32 v51, v46, v64
	v_add_f32_e32 v60, v48, v62
	v_sub_f32_e32 v47, v47, v57
	v_add_f32_e32 v57, v49, v55
	v_sub_f32_e32 v49, v55, v49
	v_add_f32_e32 v55, v53, v50
	v_fmac_f32_e32 v99, v61, v30
	v_add_f32_e32 v61, v54, v56
	v_sub_f32_e32 v54, v56, v54
	v_add_f32_e32 v56, v60, v51
	v_add_f32_e32 v55, v57, v55
	v_mul_f32_e32 v76, v76, v23
	v_add_f32_e32 v56, v61, v56
	v_add_f32_e32 v40, v40, v55
	v_mul_f32_e32 v66, v66, v11
	v_fmac_f32_e32 v76, v77, v22
	v_sub_f32_e32 v52, v93, v63
	v_sub_f32_e32 v46, v46, v64
	;; [unrolled: 1-line block ×9, first 2 shown]
	v_add_f32_e32 v64, v49, v47
	v_sub_f32_e32 v77, v49, v47
	v_add_f32_e32 v41, v41, v56
	v_mov_b32_e32 v101, v40
	v_fmac_f32_e32 v66, v67, v10
	v_add_f32_e32 v67, v54, v48
	v_sub_f32_e32 v93, v54, v48
	v_sub_f32_e32 v49, v52, v49
	;; [unrolled: 1-line block ×4, first 2 shown]
	v_add_f32_e32 v52, v64, v52
	v_mul_f32_e32 v50, 0x3f4a47b2, v50
	v_mul_f32_e32 v51, 0x3f4a47b2, v51
	v_mul_f32_e32 v57, 0x3d64c772, v53
	v_mul_f32_e32 v61, 0x3d64c772, v60
	v_mul_f32_e32 v64, 0xbf08b237, v77
	v_fmac_f32_e32 v101, 0xbf955555, v55
	v_mov_b32_e32 v55, v41
	v_sub_f32_e32 v54, v46, v54
	v_add_f32_e32 v46, v67, v46
	v_mul_f32_e32 v67, 0xbf08b237, v93
	v_mul_f32_e32 v77, 0x3f5ff5aa, v47
	;; [unrolled: 1-line block ×3, first 2 shown]
	v_fmac_f32_e32 v55, 0xbf955555, v56
	v_fma_f32 v56, v62, s14, -v57
	v_fma_f32 v57, v63, s14, -v61
	;; [unrolled: 1-line block ×3, first 2 shown]
	v_fmac_f32_e32 v50, 0x3d64c772, v53
	v_fma_f32 v53, v63, s13, -v51
	v_fmac_f32_e32 v51, 0x3d64c772, v60
	v_fma_f32 v60, v47, s12, -v64
	v_fmac_f32_e32 v64, 0x3eae86e6, v49
	v_fma_f32 v62, v48, s12, -v67
	v_fmac_f32_e32 v67, 0x3eae86e6, v54
	v_fma_f32 v63, v49, s15, -v77
	v_fma_f32 v54, v54, s15, -v93
	v_add_f32_e32 v93, v51, v55
	v_add_f32_e32 v57, v57, v55
	v_fmac_f32_e32 v64, 0x3ee1c552, v52
	v_fmac_f32_e32 v60, 0x3ee1c552, v52
	v_add_f32_e32 v77, v50, v101
	v_add_f32_e32 v56, v56, v101
	;; [unrolled: 1-line block ×4, first 2 shown]
	v_fmac_f32_e32 v67, 0x3ee1c552, v46
	v_fmac_f32_e32 v62, 0x3ee1c552, v46
	;; [unrolled: 1-line block ×4, first 2 shown]
	v_sub_f32_e32 v47, v93, v64
	v_add_f32_e32 v51, v60, v57
	v_sub_f32_e32 v53, v57, v60
	v_add_f32_e32 v57, v64, v93
	v_add_f32_e32 v60, v65, v84
	;; [unrolled: 1-line block ×5, first 2 shown]
	v_sub_f32_e32 v49, v55, v63
	v_sub_f32_e32 v50, v56, v62
	v_add_f32_e32 v52, v62, v56
	v_sub_f32_e32 v54, v61, v54
	v_add_f32_e32 v55, v63, v55
	;; [unrolled: 2-line block ×3, first 2 shown]
	v_sub_f32_e32 v62, v65, v84
	v_sub_f32_e32 v63, v68, v66
	v_add_f32_e32 v65, v94, v83
	v_add_f32_e32 v67, v95, v73
	;; [unrolled: 1-line block ×3, first 2 shown]
	v_sub_f32_e32 v58, v58, v72
	v_add_f32_e32 v72, v64, v60
	v_sub_f32_e32 v59, v69, v59
	v_sub_f32_e32 v69, v73, v95
	v_add_f32_e32 v73, v65, v61
	v_sub_f32_e32 v77, v64, v60
	v_sub_f32_e32 v60, v60, v67
	;; [unrolled: 1-line block ×3, first 2 shown]
	v_add_f32_e32 v67, v67, v72
	v_sub_f32_e32 v66, v94, v83
	v_sub_f32_e32 v83, v65, v61
	;; [unrolled: 1-line block ×4, first 2 shown]
	v_add_f32_e32 v68, v68, v73
	v_add_f32_e32 v42, v42, v67
	;; [unrolled: 1-line block ×4, first 2 shown]
	v_sub_f32_e32 v94, v69, v59
	v_sub_f32_e32 v95, v58, v66
	v_sub_f32_e32 v66, v66, v63
	v_add_f32_e32 v43, v43, v68
	v_mov_b32_e32 v101, v42
	v_sub_f32_e32 v69, v62, v69
	v_sub_f32_e32 v58, v63, v58
	;; [unrolled: 1-line block ×3, first 2 shown]
	v_add_f32_e32 v62, v84, v62
	v_add_f32_e32 v63, v93, v63
	v_mul_f32_e32 v60, 0x3f4a47b2, v60
	v_mul_f32_e32 v61, 0x3f4a47b2, v61
	;; [unrolled: 1-line block ×7, first 2 shown]
	v_fmac_f32_e32 v101, 0xbf955555, v67
	v_mov_b32_e32 v67, v43
	v_mul_f32_e32 v94, 0x3f5ff5aa, v59
	v_fmac_f32_e32 v67, 0xbf955555, v68
	v_fma_f32 v68, v77, s14, -v72
	v_fma_f32 v72, v83, s14, -v73
	;; [unrolled: 1-line block ×3, first 2 shown]
	v_fmac_f32_e32 v60, 0x3d64c772, v64
	v_fma_f32 v64, v83, s13, -v61
	v_fmac_f32_e32 v61, 0x3d64c772, v65
	v_fma_f32 v65, v59, s12, -v84
	v_fma_f32 v66, v66, s12, -v93
	;; [unrolled: 1-line block ×3, first 2 shown]
	v_fmac_f32_e32 v84, 0x3eae86e6, v69
	v_fmac_f32_e32 v93, 0x3eae86e6, v58
	v_fma_f32 v69, v69, s15, -v94
	v_add_f32_e32 v68, v68, v101
	v_add_f32_e32 v72, v72, v67
	;; [unrolled: 1-line block ×3, first 2 shown]
	v_fmac_f32_e32 v65, 0x3ee1c552, v62
	v_fmac_f32_e32 v66, 0x3ee1c552, v63
	;; [unrolled: 1-line block ×3, first 2 shown]
	v_add_f32_e32 v83, v60, v101
	v_add_f32_e32 v94, v61, v67
	;; [unrolled: 1-line block ×3, first 2 shown]
	v_fmac_f32_e32 v84, 0x3ee1c552, v62
	v_fmac_f32_e32 v93, 0x3ee1c552, v63
	v_fmac_f32_e32 v69, 0x3ee1c552, v62
	v_add_f32_e32 v60, v77, v73
	v_sub_f32_e32 v62, v68, v66
	v_add_f32_e32 v63, v65, v72
	v_add_f32_e32 v64, v66, v68
	v_sub_f32_e32 v65, v72, v65
	v_sub_f32_e32 v66, v73, v77
	v_add_f32_e32 v72, v96, v86
	v_add_f32_e32 v73, v70, v76
	v_sub_f32_e32 v70, v70, v76
	v_add_f32_e32 v76, v71, v100
	v_add_f32_e32 v58, v93, v83
	v_sub_f32_e32 v59, v94, v84
	v_sub_f32_e32 v61, v67, v69
	v_add_f32_e32 v67, v69, v67
	v_sub_f32_e32 v68, v83, v93
	v_add_f32_e32 v69, v84, v94
	v_add_f32_e32 v83, v97, v85
	v_sub_f32_e32 v84, v97, v85
	v_add_f32_e32 v85, v98, v75
	;; [unrolled: 3-line block ×3, first 2 shown]
	v_add_f32_e32 v94, v83, v73
	v_sub_f32_e32 v95, v76, v72
	v_sub_f32_e32 v72, v72, v85
	;; [unrolled: 1-line block ×3, first 2 shown]
	v_add_f32_e32 v85, v85, v93
	v_sub_f32_e32 v71, v71, v100
	v_sub_f32_e32 v75, v75, v98
	;; [unrolled: 1-line block ×6, first 2 shown]
	v_add_f32_e32 v86, v86, v94
	v_add_f32_e32 v44, v44, v85
	ds_write2_b64 v211, v[40:41], v[46:47] offset1:24
	ds_write2_b64 v211, v[48:49], v[50:51] offset0:48 offset1:72
	ds_write2_b64 v211, v[52:53], v[54:55] offset0:96 offset1:120
	ds_write_b64 v211, v[56:57] offset:1152
	v_mul_u32_u24_e32 v40, 0xa8, v89
	v_add_f32_e32 v97, v75, v71
	v_add_f32_e32 v98, v74, v84
	v_sub_f32_e32 v99, v75, v71
	v_sub_f32_e32 v100, v74, v84
	;; [unrolled: 1-line block ×3, first 2 shown]
	v_add_f32_e32 v45, v45, v86
	v_mov_b32_e32 v101, v44
	v_add_lshl_u32 v212, v40, v90, 3
	v_sub_f32_e32 v75, v77, v75
	v_sub_f32_e32 v74, v70, v74
	;; [unrolled: 1-line block ×3, first 2 shown]
	v_add_f32_e32 v77, v97, v77
	v_add_f32_e32 v70, v98, v70
	v_mul_f32_e32 v72, 0x3f4a47b2, v72
	v_mul_f32_e32 v73, 0x3f4a47b2, v73
	v_mul_f32_e32 v93, 0x3d64c772, v76
	v_mul_f32_e32 v94, 0x3d64c772, v83
	v_mul_f32_e32 v97, 0xbf08b237, v99
	v_mul_f32_e32 v98, 0xbf08b237, v100
	v_mul_f32_e32 v99, 0x3f5ff5aa, v71
	v_fmac_f32_e32 v101, 0xbf955555, v85
	v_mov_b32_e32 v85, v45
	ds_write2_b64 v212, v[42:43], v[58:59] offset1:24
	ds_write2_b64 v212, v[60:61], v[62:63] offset0:48 offset1:72
	ds_write2_b64 v212, v[64:65], v[66:67] offset0:96 offset1:120
	ds_write_b64 v212, v[68:69] offset:1152
	v_mad_u64_u32 v[60:61], s[4:5], v169, 48, s[4:5]
	v_mul_f32_e32 v100, 0x3f5ff5aa, v84
	v_fmac_f32_e32 v85, 0xbf955555, v86
	v_fma_f32 v86, v95, s14, -v93
	v_fma_f32 v93, v96, s14, -v94
	;; [unrolled: 1-line block ×3, first 2 shown]
	v_fmac_f32_e32 v72, 0x3d64c772, v76
	v_fma_f32 v76, v96, s13, -v73
	v_fmac_f32_e32 v73, 0x3d64c772, v83
	v_fma_f32 v83, v71, s12, -v97
	v_fmac_f32_e32 v97, 0x3eae86e6, v75
	v_fma_f32 v84, v84, s12, -v98
	v_fmac_f32_e32 v98, 0x3eae86e6, v74
	v_fma_f32 v95, v75, s15, -v99
	v_fma_f32 v96, v74, s15, -v100
	v_add_f32_e32 v99, v72, v101
	v_add_f32_e32 v100, v73, v85
	;; [unrolled: 1-line block ×5, first 2 shown]
	v_fmac_f32_e32 v97, 0x3ee1c552, v77
	v_fmac_f32_e32 v98, 0x3ee1c552, v70
	;; [unrolled: 1-line block ×4, first 2 shown]
	v_mul_u32_u24_e32 v40, 0xa8, v91
	v_add_f32_e32 v94, v94, v101
	v_fmac_f32_e32 v83, 0x3ee1c552, v77
	v_fmac_f32_e32 v96, 0x3ee1c552, v70
	v_add_f32_e32 v70, v98, v99
	v_sub_f32_e32 v71, v100, v97
	v_sub_f32_e32 v73, v85, v95
	v_sub_f32_e32 v74, v86, v84
	v_add_f32_e32 v76, v84, v86
	v_add_f32_e32 v84, v95, v85
	v_sub_f32_e32 v85, v99, v98
	v_add_f32_e32 v86, v97, v100
	v_add_lshl_u32 v213, v40, v92, 3
	v_add_f32_e32 v72, v96, v94
	v_add_f32_e32 v75, v83, v93
	v_sub_f32_e32 v77, v93, v83
	v_sub_f32_e32 v83, v94, v96
	ds_write2_b64 v213, v[44:45], v[70:71] offset1:24
	ds_write2_b64 v213, v[72:73], v[74:75] offset0:48 offset1:72
	ds_write2_b64 v213, v[76:77], v[83:84] offset0:96 offset1:120
	ds_write_b64 v213, v[85:86] offset:1152
	s_waitcnt lgkmcnt(0)
	; wave barrier
	s_waitcnt lgkmcnt(0)
	global_load_dwordx4 v[56:59], v[60:61], off offset:1328
	global_load_dwordx4 v[48:51], v[60:61], off offset:1344
	;; [unrolled: 1-line block ×6, first 2 shown]
	s_movk_i32 s4, 0x1000
	v_add_co_u32_e32 v62, vcc, s4, v60
	v_addc_co_u32_e32 v63, vcc, 0, v61, vcc
	global_load_dwordx4 v[72:75], v[62:63], off offset:2608
	s_movk_i32 s4, 0x1a30
	v_add_co_u32_e32 v60, vcc, s4, v60
	v_addc_co_u32_e32 v61, vcc, 0, v61, vcc
	global_load_dwordx4 v[68:71], v[60:61], off offset:16
	s_nop 0
	global_load_dwordx4 v[60:63], v[60:61], off offset:32
	v_lshlrev_b32_e32 v76, 3, v169
	v_mov_b32_e32 v77, s7
	v_add_co_u32_e32 v83, vcc, s6, v76
	v_addc_co_u32_e32 v84, vcc, 0, v77, vcc
	ds_read2_b64 v[85:88], v167 offset1:56
	ds_read2_b64 v[89:92], v167 offset0:112 offset1:168
	ds_read2_b64 v[93:96], v78 offset0:80 offset1:136
	ds_read2_b64 v[97:100], v78 offset0:192 offset1:248
	ds_read2_b64 v[101:104], v81 offset0:160 offset1:216
	ds_read2_b64 v[105:108], v79 offset0:16 offset1:72
	ds_read2_b64 v[109:112], v82 offset0:112 offset1:168
	ds_read2_b64 v[214:217], v80 offset0:96 offset1:152
	ds_read2_b64 v[218:221], v81 offset0:48 offset1:104
	ds_read2_b64 v[222:225], v79 offset0:128 offset1:184
	ds_read_b64 v[76:77], v167 offset:8960
	s_movk_i32 s4, 0x2000
	s_movk_i32 s5, 0x3000
	s_waitcnt vmcnt(8) lgkmcnt(9)
	v_mul_f32_e32 v113, v92, v57
	v_fma_f32 v113, v91, v56, -v113
	v_mul_f32_e32 v91, v91, v57
	v_fmac_f32_e32 v91, v92, v56
	s_waitcnt lgkmcnt(8)
	v_mul_f32_e32 v92, v94, v59
	v_fma_f32 v92, v93, v58, -v92
	v_mul_f32_e32 v93, v93, v59
	v_fmac_f32_e32 v93, v94, v58
	s_waitcnt vmcnt(7) lgkmcnt(7)
	v_mul_f32_e32 v94, v100, v49
	v_fma_f32 v94, v99, v48, -v94
	v_mul_f32_e32 v99, v99, v49
	v_fmac_f32_e32 v99, v100, v48
	s_waitcnt lgkmcnt(6)
	v_mul_f32_e32 v100, v102, v51
	v_fma_f32 v100, v101, v50, -v100
	v_mul_f32_e32 v101, v101, v51
	v_fmac_f32_e32 v101, v102, v50
	s_waitcnt vmcnt(6) lgkmcnt(5)
	v_mul_f32_e32 v102, v108, v41
	v_fma_f32 v102, v107, v40, -v102
	v_mul_f32_e32 v107, v107, v41
	s_waitcnt vmcnt(5)
	v_mul_f32_e32 v115, v96, v67
	v_fmac_f32_e32 v107, v108, v40
	s_waitcnt lgkmcnt(4)
	v_mul_f32_e32 v108, v110, v43
	v_fma_f32 v115, v95, v66, -v115
	v_mul_f32_e32 v118, v95, v67
	s_waitcnt vmcnt(4) lgkmcnt(2)
	v_mul_f32_e32 v95, v219, v53
	v_fma_f32 v108, v109, v42, -v108
	v_mul_f32_e32 v109, v109, v43
	v_mul_f32_e32 v114, v214, v65
	v_fma_f32 v119, v218, v52, -v95
	v_mul_f32_e32 v95, v104, v55
	v_fmac_f32_e32 v109, v110, v42
	v_mul_f32_e32 v110, v215, v65
	v_fmac_f32_e32 v114, v215, v64
	v_fma_f32 v215, v103, v54, -v95
	v_mul_f32_e32 v103, v103, v55
	s_waitcnt vmcnt(3) lgkmcnt(1)
	v_mul_f32_e32 v95, v223, v45
	v_fma_f32 v110, v214, v64, -v110
	v_mul_f32_e32 v214, v218, v53
	v_fmac_f32_e32 v103, v104, v54
	v_fma_f32 v104, v222, v44, -v95
	v_mul_f32_e32 v95, v112, v47
	v_fmac_f32_e32 v214, v219, v52
	v_fma_f32 v219, v111, v46, -v95
	s_waitcnt vmcnt(2)
	v_mul_f32_e32 v95, v217, v73
	v_mul_f32_e32 v218, v222, v45
	v_fma_f32 v222, v216, v72, -v95
	v_mul_f32_e32 v216, v216, v73
	v_mul_f32_e32 v95, v98, v75
	v_fmac_f32_e32 v216, v217, v72
	v_fma_f32 v217, v97, v74, -v95
	s_waitcnt vmcnt(1)
	v_mul_f32_e32 v95, v221, v69
	v_fma_f32 v226, v220, v68, -v95
	v_mul_f32_e32 v220, v220, v69
	v_mul_f32_e32 v95, v106, v71
	v_fmac_f32_e32 v220, v221, v68
	v_fma_f32 v221, v105, v70, -v95
	s_waitcnt vmcnt(0)
	v_mul_f32_e32 v95, v225, v61
	v_fma_f32 v228, v224, v60, -v95
	v_mul_f32_e32 v224, v224, v61
	s_waitcnt lgkmcnt(0)
	v_mul_f32_e32 v95, v77, v63
	v_fmac_f32_e32 v118, v96, v66
	v_fmac_f32_e32 v218, v223, v44
	v_mul_f32_e32 v223, v97, v75
	v_fmac_f32_e32 v224, v225, v60
	v_fma_f32 v225, v76, v62, -v95
	v_mul_f32_e32 v229, v76, v63
	v_add_f32_e32 v76, v113, v108
	v_add_f32_e32 v96, v92, v102
	v_fmac_f32_e32 v223, v98, v74
	v_fmac_f32_e32 v229, v77, v62
	v_add_f32_e32 v77, v91, v109
	v_add_f32_e32 v97, v93, v107
	v_sub_f32_e32 v92, v92, v102
	v_add_f32_e32 v98, v94, v100
	v_sub_f32_e32 v94, v100, v94
	v_add_f32_e32 v100, v96, v76
	v_mul_f32_e32 v227, v105, v71
	v_sub_f32_e32 v95, v113, v108
	v_sub_f32_e32 v93, v93, v107
	v_add_f32_e32 v102, v99, v101
	v_sub_f32_e32 v99, v101, v99
	v_add_f32_e32 v101, v97, v77
	v_sub_f32_e32 v105, v96, v76
	v_sub_f32_e32 v107, v76, v98
	;; [unrolled: 1-line block ×3, first 2 shown]
	v_add_f32_e32 v76, v94, v92
	v_add_f32_e32 v98, v98, v100
	v_mul_f32_e32 v111, v111, v47
	v_fmac_f32_e32 v227, v106, v70
	v_sub_f32_e32 v91, v91, v109
	v_sub_f32_e32 v106, v97, v77
	;; [unrolled: 1-line block ×3, first 2 shown]
	v_add_f32_e32 v77, v99, v93
	v_sub_f32_e32 v109, v94, v92
	v_sub_f32_e32 v94, v95, v94
	;; [unrolled: 1-line block ×3, first 2 shown]
	v_add_f32_e32 v100, v102, v101
	v_add_f32_e32 v95, v76, v95
	;; [unrolled: 1-line block ×3, first 2 shown]
	v_fmac_f32_e32 v111, v112, v46
	v_sub_f32_e32 v97, v102, v97
	v_sub_f32_e32 v112, v99, v93
	;; [unrolled: 1-line block ×4, first 2 shown]
	v_add_f32_e32 v91, v77, v91
	v_add_f32_e32 v77, v86, v100
	v_mov_b32_e32 v113, v76
	v_mul_f32_e32 v85, 0x3f4a47b2, v107
	v_mul_f32_e32 v86, 0x3f4a47b2, v108
	;; [unrolled: 1-line block ×6, first 2 shown]
	v_fmac_f32_e32 v113, 0xbf955555, v98
	v_mov_b32_e32 v98, v77
	v_mul_f32_e32 v109, 0x3f5ff5aa, v92
	v_mul_f32_e32 v112, 0x3f5ff5aa, v93
	v_fmac_f32_e32 v98, 0xbf955555, v100
	v_fma_f32 v100, v105, s14, -v101
	v_fma_f32 v101, v106, s14, -v102
	;; [unrolled: 1-line block ×3, first 2 shown]
	v_fmac_f32_e32 v85, 0x3d64c772, v96
	v_fma_f32 v96, v106, s13, -v86
	v_fmac_f32_e32 v86, 0x3d64c772, v97
	v_fma_f32 v97, v92, s12, -v107
	;; [unrolled: 2-line block ×4, first 2 shown]
	v_fma_f32 v99, v99, s15, -v112
	v_add_f32_e32 v112, v86, v98
	v_add_f32_e32 v100, v100, v113
	;; [unrolled: 1-line block ×3, first 2 shown]
	v_fmac_f32_e32 v107, 0x3ee1c552, v95
	v_fmac_f32_e32 v97, 0x3ee1c552, v95
	;; [unrolled: 1-line block ×3, first 2 shown]
	v_add_f32_e32 v109, v85, v113
	v_add_f32_e32 v102, v102, v113
	;; [unrolled: 1-line block ×3, first 2 shown]
	v_fmac_f32_e32 v108, 0x3ee1c552, v91
	v_fmac_f32_e32 v106, 0x3ee1c552, v95
	;; [unrolled: 1-line block ×3, first 2 shown]
	v_sub_f32_e32 v86, v112, v107
	v_sub_f32_e32 v93, v100, v105
	v_add_f32_e32 v94, v97, v101
	v_add_f32_e32 v95, v105, v100
	v_sub_f32_e32 v96, v101, v97
	v_add_f32_e32 v100, v107, v112
	v_add_f32_e32 v101, v110, v219
	;; [unrolled: 1-line block ×5, first 2 shown]
	v_sub_f32_e32 v97, v102, v99
	v_sub_f32_e32 v99, v109, v108
	v_add_f32_e32 v102, v114, v111
	v_sub_f32_e32 v105, v110, v219
	v_add_f32_e32 v108, v118, v218
	v_add_f32_e32 v110, v119, v215
	;; [unrolled: 1-line block ×3, first 2 shown]
	v_sub_f32_e32 v92, v98, v106
	v_add_f32_e32 v98, v106, v98
	v_sub_f32_e32 v106, v114, v111
	v_sub_f32_e32 v104, v115, v104
	v_add_f32_e32 v111, v214, v103
	v_add_f32_e32 v114, v108, v102
	v_sub_f32_e32 v115, v107, v101
	v_sub_f32_e32 v101, v101, v110
	;; [unrolled: 1-line block ×3, first 2 shown]
	v_add_f32_e32 v110, v110, v113
	v_sub_f32_e32 v109, v118, v218
	v_sub_f32_e32 v112, v215, v119
	;; [unrolled: 1-line block ×5, first 2 shown]
	v_add_f32_e32 v111, v111, v114
	v_add_f32_e32 v87, v87, v110
	v_sub_f32_e32 v103, v103, v214
	v_add_f32_e32 v119, v112, v104
	v_sub_f32_e32 v215, v112, v104
	v_sub_f32_e32 v104, v104, v105
	v_add_f32_e32 v88, v88, v111
	v_mov_b32_e32 v219, v87
	v_add_f32_e32 v214, v103, v109
	v_sub_f32_e32 v218, v103, v109
	v_sub_f32_e32 v112, v105, v112
	v_sub_f32_e32 v109, v109, v106
	v_add_f32_e32 v105, v119, v105
	v_mul_f32_e32 v101, 0x3f4a47b2, v101
	v_mul_f32_e32 v102, 0x3f4a47b2, v102
	;; [unrolled: 1-line block ×6, first 2 shown]
	v_fmac_f32_e32 v219, 0xbf955555, v110
	v_mov_b32_e32 v110, v88
	v_sub_f32_e32 v103, v106, v103
	v_add_f32_e32 v106, v214, v106
	v_mul_f32_e32 v214, 0xbf08b237, v218
	v_mul_f32_e32 v218, 0x3f5ff5aa, v109
	v_fmac_f32_e32 v110, 0xbf955555, v111
	v_fma_f32 v111, v115, s14, -v113
	v_fma_f32 v113, v118, s14, -v114
	;; [unrolled: 1-line block ×3, first 2 shown]
	v_fmac_f32_e32 v101, 0x3d64c772, v107
	v_fma_f32 v107, v118, s13, -v102
	v_fmac_f32_e32 v102, 0x3d64c772, v108
	v_fma_f32 v108, v104, s12, -v119
	;; [unrolled: 2-line block ×3, first 2 shown]
	v_fma_f32 v109, v109, s12, -v214
	v_fmac_f32_e32 v214, 0x3eae86e6, v103
	v_fma_f32 v115, v103, s15, -v218
	v_add_f32_e32 v215, v102, v110
	v_add_f32_e32 v113, v113, v110
	;; [unrolled: 1-line block ×3, first 2 shown]
	v_fmac_f32_e32 v119, 0x3ee1c552, v105
	v_fmac_f32_e32 v108, 0x3ee1c552, v105
	;; [unrolled: 1-line block ×3, first 2 shown]
	v_add_f32_e32 v118, v101, v219
	v_add_f32_e32 v111, v111, v219
	;; [unrolled: 1-line block ×3, first 2 shown]
	v_fmac_f32_e32 v214, 0x3ee1c552, v106
	v_fmac_f32_e32 v109, 0x3ee1c552, v106
	;; [unrolled: 1-line block ×3, first 2 shown]
	v_sub_f32_e32 v102, v215, v119
	v_sub_f32_e32 v104, v110, v112
	v_add_f32_e32 v106, v108, v113
	v_sub_f32_e32 v108, v113, v108
	v_add_f32_e32 v110, v112, v110
	v_add_f32_e32 v112, v119, v215
	;; [unrolled: 1-line block ×6, first 2 shown]
	v_sub_f32_e32 v105, v111, v109
	v_add_f32_e32 v107, v109, v111
	v_sub_f32_e32 v109, v114, v115
	v_sub_f32_e32 v111, v118, v214
	v_add_f32_e32 v114, v216, v229
	v_add_f32_e32 v214, v223, v224
	v_sub_f32_e32 v215, v217, v228
	v_add_f32_e32 v217, v226, v221
	v_sub_f32_e32 v219, v221, v226
	;; [unrolled: 2-line block ×3, first 2 shown]
	v_sub_f32_e32 v118, v216, v229
	v_sub_f32_e32 v216, v223, v224
	v_add_f32_e32 v218, v220, v227
	v_add_f32_e32 v222, v214, v114
	v_sub_f32_e32 v223, v119, v113
	v_sub_f32_e32 v113, v113, v217
	;; [unrolled: 1-line block ×3, first 2 shown]
	v_add_f32_e32 v217, v217, v221
	v_sub_f32_e32 v220, v227, v220
	v_sub_f32_e32 v224, v214, v114
	;; [unrolled: 1-line block ×4, first 2 shown]
	v_add_f32_e32 v218, v218, v222
	v_add_f32_e32 v89, v89, v217
	;; [unrolled: 1-line block ×4, first 2 shown]
	v_sub_f32_e32 v227, v219, v215
	v_sub_f32_e32 v228, v220, v216
	;; [unrolled: 1-line block ×4, first 2 shown]
	v_add_f32_e32 v90, v90, v218
	v_mov_b32_e32 v229, v89
	v_sub_f32_e32 v219, v115, v219
	v_sub_f32_e32 v220, v118, v220
	v_add_f32_e32 v115, v225, v115
	v_add_f32_e32 v118, v226, v118
	v_mul_f32_e32 v113, 0x3f4a47b2, v113
	v_mul_f32_e32 v114, 0x3f4a47b2, v114
	;; [unrolled: 1-line block ×8, first 2 shown]
	v_fmac_f32_e32 v229, 0xbf955555, v217
	v_mov_b32_e32 v217, v90
	v_fmac_f32_e32 v217, 0xbf955555, v218
	v_fma_f32 v218, v223, s14, -v221
	v_fma_f32 v221, v224, s14, -v222
	v_fma_f32 v222, v223, s13, -v113
	v_fmac_f32_e32 v113, 0x3d64c772, v119
	v_fma_f32 v119, v224, s13, -v114
	v_fmac_f32_e32 v114, 0x3d64c772, v214
	v_fma_f32 v223, v215, s12, -v225
	;; [unrolled: 2-line block ×4, first 2 shown]
	v_fma_f32 v220, v220, s15, -v228
	v_add_f32_e32 v228, v113, v229
	v_add_f32_e32 v230, v114, v217
	;; [unrolled: 1-line block ×6, first 2 shown]
	v_fmac_f32_e32 v225, 0x3ee1c552, v115
	v_fmac_f32_e32 v226, 0x3ee1c552, v118
	;; [unrolled: 1-line block ×6, first 2 shown]
	v_add_f32_e32 v113, v226, v228
	v_sub_f32_e32 v114, v230, v225
	v_add_f32_e32 v214, v220, v221
	v_sub_f32_e32 v215, v119, v227
	v_sub_f32_e32 v216, v218, v224
	v_add_f32_e32 v217, v223, v219
	v_add_f32_e32 v218, v224, v218
	v_sub_f32_e32 v219, v219, v223
	v_sub_f32_e32 v220, v221, v220
	v_add_f32_e32 v221, v227, v119
	v_sub_f32_e32 v118, v228, v226
	v_add_f32_e32 v119, v225, v230
	ds_write_b64 v167, v[85:86] offset:1344
	ds_write_b64 v167, v[91:92] offset:2688
	;; [unrolled: 1-line block ×6, first 2 shown]
	ds_write2_b64 v167, v[76:77], v[87:88] offset1:56
	ds_write_b64 v167, v[103:104] offset:3136
	ds_write_b64 v167, v[105:106] offset:4480
	;; [unrolled: 1-line block ×6, first 2 shown]
	ds_write2_b64 v80, v[101:102], v[113:114] offset0:96 offset1:152
	ds_write_b64 v167, v[214:215] offset:3584
	ds_write_b64 v167, v[216:217] offset:4928
	;; [unrolled: 1-line block ×5, first 2 shown]
	v_add_co_u32_e32 v76, vcc, s4, v83
	v_addc_co_u32_e32 v77, vcc, 0, v84, vcc
	s_waitcnt lgkmcnt(0)
	; wave barrier
	s_waitcnt lgkmcnt(0)
	global_load_dwordx2 v[87:88], v[76:77], off offset:1216
	v_add_co_u32_e32 v85, vcc, s5, v83
	v_addc_co_u32_e32 v86, vcc, 0, v84, vcc
	global_load_dwordx2 v[91:92], v[85:86], off offset:1824
	s_movk_i32 s4, 0x24c0
	v_add_co_u32_e32 v76, vcc, s4, v83
	v_addc_co_u32_e32 v77, vcc, 0, v84, vcc
	global_load_dwordx2 v[93:94], v[76:77], off offset:448
	global_load_dwordx2 v[95:96], v[85:86], off offset:2272
	global_load_dwordx2 v[97:98], v[76:77], off offset:896
	global_load_dwordx2 v[99:100], v[85:86], off offset:2720
	global_load_dwordx2 v[101:102], v[76:77], off offset:1344
	global_load_dwordx2 v[103:104], v[85:86], off offset:3168
	global_load_dwordx2 v[105:106], v[76:77], off offset:1792
	global_load_dwordx2 v[107:108], v[85:86], off offset:3616
	global_load_dwordx2 v[109:110], v[76:77], off offset:2240
	global_load_dwordx2 v[111:112], v[85:86], off offset:4064
	global_load_dwordx2 v[113:114], v[76:77], off offset:2688
	s_movk_i32 s4, 0x4000
	v_add_co_u32_e32 v214, vcc, s4, v83
	v_addc_co_u32_e32 v215, vcc, 0, v84, vcc
	ds_read2_b64 v[83:86], v167 offset1:56
	global_load_dwordx2 v[216:217], v[214:215], off offset:416
	global_load_dwordx2 v[218:219], v[76:77], off offset:3136
	;; [unrolled: 1-line block ×5, first 2 shown]
	s_waitcnt vmcnt(17) lgkmcnt(0)
	v_mul_f32_e32 v89, v84, v88
	v_mul_f32_e32 v90, v83, v88
	v_fma_f32 v89, v83, v87, -v89
	v_fmac_f32_e32 v90, v84, v87
	ds_write_b64 v167, v[89:90]
	ds_read2_b64 v[87:90], v81 offset0:76 offset1:132
	s_waitcnt vmcnt(16) lgkmcnt(0)
	v_mul_f32_e32 v83, v88, v92
	v_fma_f32 v226, v87, v91, -v83
	v_mul_f32_e32 v227, v87, v92
	s_waitcnt vmcnt(15)
	v_mul_f32_e32 v83, v86, v94
	v_mul_f32_e32 v92, v85, v94
	s_waitcnt vmcnt(14)
	v_mul_f32_e32 v87, v90, v96
	v_mul_f32_e32 v94, v89, v96
	v_fmac_f32_e32 v227, v88, v91
	v_fma_f32 v91, v85, v93, -v83
	v_fmac_f32_e32 v92, v86, v93
	v_fma_f32 v93, v89, v95, -v87
	v_fmac_f32_e32 v94, v90, v95
	global_load_dwordx2 v[95:96], v[214:215], off offset:1760
	global_load_dwordx2 v[224:225], v[76:77], off offset:3584
	ds_read2_b64 v[83:86], v167 offset0:112 offset1:168
	ds_read2_b64 v[87:90], v81 offset0:188 offset1:244
	s_waitcnt vmcnt(15) lgkmcnt(1)
	v_mul_f32_e32 v115, v84, v98
	v_mul_f32_e32 v215, v83, v98
	v_fma_f32 v214, v83, v97, -v115
	v_fmac_f32_e32 v215, v84, v97
	s_waitcnt vmcnt(14) lgkmcnt(0)
	v_mul_f32_e32 v83, v88, v100
	v_mul_f32_e32 v84, v87, v100
	v_fma_f32 v83, v87, v99, -v83
	v_fmac_f32_e32 v84, v88, v99
	ds_write2_b64 v167, v[91:92], v[214:215] offset0:56 offset1:112
	ds_write2_b64 v81, v[93:94], v[83:84] offset0:132 offset1:188
	s_waitcnt vmcnt(13)
	v_mul_f32_e32 v83, v86, v102
	v_mul_f32_e32 v92, v85, v102
	v_fma_f32 v91, v85, v101, -v83
	v_fmac_f32_e32 v92, v86, v101
	ds_read2_b64 v[83:86], v80 offset0:96 offset1:152
	s_waitcnt vmcnt(12)
	v_mul_f32_e32 v87, v90, v104
	v_mul_f32_e32 v94, v89, v104
	v_fma_f32 v93, v89, v103, -v87
	v_fmac_f32_e32 v94, v90, v103
	ds_read2_b64 v[87:90], v79 offset0:44 offset1:100
	s_waitcnt vmcnt(11) lgkmcnt(1)
	v_mul_f32_e32 v97, v84, v106
	v_mul_f32_e32 v98, v83, v106
	v_fma_f32 v97, v83, v105, -v97
	v_fmac_f32_e32 v98, v84, v105
	s_waitcnt vmcnt(10) lgkmcnt(0)
	v_mul_f32_e32 v83, v88, v108
	v_mul_f32_e32 v84, v87, v108
	v_fma_f32 v83, v87, v107, -v83
	v_fmac_f32_e32 v84, v88, v107
	v_add_u32_e32 v87, 0x1400, v167
	ds_write2_b64 v167, v[91:92], v[97:98] offset0:168 offset1:224
	ds_write2_b64 v87, v[93:94], v[83:84] offset0:116 offset1:172
	s_waitcnt vmcnt(9)
	v_mul_f32_e32 v83, v86, v110
	v_mul_f32_e32 v92, v85, v110
	v_fma_f32 v91, v85, v109, -v83
	v_fmac_f32_e32 v92, v86, v109
	ds_read2_b64 v[83:86], v78 offset0:80 offset1:136
	s_waitcnt vmcnt(8)
	v_mul_f32_e32 v87, v90, v112
	v_mul_f32_e32 v94, v89, v112
	v_fma_f32 v93, v89, v111, -v87
	v_fmac_f32_e32 v94, v90, v111
	ds_read2_b64 v[87:90], v79 offset0:156 offset1:212
	s_waitcnt vmcnt(7) lgkmcnt(1)
	v_mul_f32_e32 v97, v84, v114
	v_mul_f32_e32 v98, v83, v114
	v_fma_f32 v97, v83, v113, -v97
	v_fmac_f32_e32 v98, v84, v113
	s_waitcnt vmcnt(6) lgkmcnt(0)
	v_mul_f32_e32 v83, v88, v217
	v_mul_f32_e32 v84, v87, v217
	v_fma_f32 v83, v87, v216, -v83
	v_fmac_f32_e32 v84, v88, v216
	ds_write2_b64 v79, v[93:94], v[83:84] offset0:100 offset1:156
	s_waitcnt vmcnt(5)
	v_mul_f32_e32 v83, v86, v219
	v_mul_f32_e32 v94, v85, v219
	ds_write2_b64 v78, v[91:92], v[97:98] offset0:24 offset1:80
	v_fma_f32 v93, v85, v218, -v83
	v_fmac_f32_e32 v94, v86, v218
	ds_read2_b64 v[83:86], v78 offset0:192 offset1:248
	s_waitcnt vmcnt(3)
	v_mul_f32_e32 v87, v90, v223
	v_mul_f32_e32 v98, v89, v223
	v_add_u32_e32 v88, 0x2000, v167
	v_fma_f32 v97, v89, v222, -v87
	v_fmac_f32_e32 v98, v90, v222
	ds_read2_b64 v[89:92], v88 offset0:12 offset1:68
	s_waitcnt vmcnt(0) lgkmcnt(1)
	v_mul_f32_e32 v87, v84, v225
	v_mul_f32_e32 v100, v83, v225
	v_fma_f32 v99, v83, v224, -v87
	v_fmac_f32_e32 v100, v84, v224
	s_waitcnt lgkmcnt(0)
	v_mul_f32_e32 v83, v90, v229
	v_mul_f32_e32 v84, v89, v229
	v_fma_f32 v83, v89, v228, -v83
	v_fmac_f32_e32 v84, v90, v228
	ds_write2_b64 v82, v[97:98], v[83:84] offset0:84 offset1:140
	v_mul_f32_e32 v82, v86, v221
	v_mul_f32_e32 v83, v85, v221
	v_fma_f32 v82, v85, v220, -v82
	v_fmac_f32_e32 v83, v86, v220
	v_add_u32_e32 v84, 0xc00, v167
	ds_write2_b64 v84, v[82:83], v[226:227] offset0:120 offset1:204
	v_mul_f32_e32 v82, v92, v96
	v_mul_f32_e32 v83, v91, v96
	v_fma_f32 v82, v91, v95, -v82
	v_fmac_f32_e32 v83, v92, v95
	ds_write2_b64 v78, v[93:94], v[99:100] offset0:136 offset1:192
	ds_write_b64 v167, v[82:83] offset:8736
	s_and_saveexec_b64 s[4:5], s[0:1]
	s_cbranch_execz .LBB0_17
; %bb.16:
	v_add_co_u32_e32 v82, vcc, 0x1000, v76
	v_addc_co_u32_e32 v83, vcc, 0, v77, vcc
	v_add_co_u32_e32 v76, vcc, 0x2000, v76
	global_load_dwordx2 v[82:83], v[82:83], off offset:384
	v_addc_co_u32_e32 v77, vcc, 0, v77, vcc
	global_load_dwordx2 v[76:77], v[76:77], off offset:992
	ds_read_b64 v[84:85], v167 offset:4480
	ds_read_b64 v[86:87], v167 offset:9184
	s_waitcnt vmcnt(1) lgkmcnt(1)
	v_mul_f32_e32 v89, v85, v83
	v_mul_f32_e32 v90, v84, v83
	v_fma_f32 v89, v84, v82, -v89
	v_fmac_f32_e32 v90, v85, v82
	s_waitcnt vmcnt(0) lgkmcnt(0)
	v_mul_f32_e32 v82, v87, v77
	v_mul_f32_e32 v83, v86, v77
	v_fma_f32 v82, v86, v76, -v82
	v_fmac_f32_e32 v83, v87, v76
	ds_write_b64 v167, v[89:90] offset:4480
	ds_write_b64 v167, v[82:83] offset:9184
.LBB0_17:
	s_or_b64 exec, exec, s[4:5]
	s_waitcnt lgkmcnt(0)
	; wave barrier
	s_waitcnt lgkmcnt(0)
	ds_read2_b64 v[100:103], v167 offset1:56
	ds_read2_b64 v[112:115], v81 offset0:76 offset1:132
	ds_read2_b64 v[92:95], v167 offset0:112 offset1:168
	;; [unrolled: 1-line block ×9, first 2 shown]
	v_lshlrev_b32_e32 v214, 3, v192
	v_lshlrev_b32_e32 v192, 3, v193
	s_and_saveexec_b64 s[4:5], s[0:1]
	s_cbranch_execz .LBB0_19
; %bb.18:
	ds_read_b64 v[118:119], v167 offset:4480
	ds_read_b64 v[116:117], v167 offset:9184
.LBB0_19:
	s_or_b64 exec, exec, s[4:5]
	s_waitcnt lgkmcnt(8)
	v_sub_f32_e32 v114, v102, v114
	v_sub_f32_e32 v115, v103, v115
	s_waitcnt lgkmcnt(6)
	v_sub_f32_e32 v110, v94, v110
	v_sub_f32_e32 v111, v95, v111
	s_waitcnt lgkmcnt(4)
	v_sub_f32_e32 v106, v86, v106
	v_sub_f32_e32 v107, v87, v107
	s_waitcnt lgkmcnt(2)
	v_sub_f32_e32 v98, v82, v98
	v_sub_f32_e32 v99, v83, v99
	s_waitcnt lgkmcnt(0)
	v_sub_f32_e32 v90, v78, v90
	v_sub_f32_e32 v91, v79, v91
	v_sub_f32_e32 v217, v100, v112
	v_sub_f32_e32 v218, v101, v113
	v_fma_f32 v112, v102, 2.0, -v114
	v_fma_f32 v113, v103, 2.0, -v115
	v_sub_f32_e32 v102, v92, v108
	v_sub_f32_e32 v103, v93, v109
	v_fma_f32 v108, v94, 2.0, -v110
	v_fma_f32 v109, v95, 2.0, -v111
	;; [unrolled: 4-line block ×6, first 2 shown]
	v_fma_f32 v100, v92, 2.0, -v102
	v_fma_f32 v101, v93, 2.0, -v103
	;; [unrolled: 1-line block ×10, first 2 shown]
	s_waitcnt lgkmcnt(0)
	; wave barrier
	ds_write_b128 v173, v[215:218]
	ds_write_b128 v174, v[112:115]
	ds_write_b128 v175, v[100:103]
	ds_write_b128 v176, v[108:111]
	ds_write_b128 v177, v[92:95]
	ds_write_b128 v178, v[104:107]
	ds_write_b128 v179, v[84:87]
	ds_write_b128 v214, v[96:99]
	ds_write_b128 v181, v[80:83]
	ds_write_b128 v192, v[88:91]
	s_and_saveexec_b64 s[4:5], s[0:1]
	s_cbranch_execz .LBB0_21
; %bb.20:
	ds_write_b128 v180, v[76:79]
.LBB0_21:
	s_or_b64 exec, exec, s[4:5]
	v_add_u32_e32 v80, 0x1000, v167
	s_waitcnt lgkmcnt(0)
	; wave barrier
	s_waitcnt lgkmcnt(0)
	ds_read2_b64 v[96:99], v167 offset1:56
	ds_read2_b64 v[116:119], v80 offset0:76 offset1:132
	ds_read2_b64 v[92:95], v167 offset0:112 offset1:168
	;; [unrolled: 1-line block ×3, first 2 shown]
	v_add_u32_e32 v80, 0x400, v167
	ds_read2_b64 v[84:87], v80 offset0:96 offset1:152
	v_add_u32_e32 v80, 0x1800, v167
	v_add_u32_e32 v81, 0x800, v167
	ds_read2_b64 v[108:111], v80 offset0:44 offset1:100
	ds_read2_b64 v[88:91], v81 offset0:80 offset1:136
	;; [unrolled: 1-line block ×4, first 2 shown]
	v_add_u32_e32 v100, 0x2000, v167
	ds_read2_b64 v[100:103], v100 offset0:12 offset1:68
	s_and_saveexec_b64 s[4:5], s[0:1]
	s_cbranch_execz .LBB0_23
; %bb.22:
	ds_read_b64 v[76:77], v167 offset:4480
	ds_read_b64 v[78:79], v167 offset:9184
.LBB0_23:
	s_or_b64 exec, exec, s[4:5]
	s_waitcnt lgkmcnt(8)
	v_mul_f32_e32 v173, v162, v117
	v_fmac_f32_e32 v173, v161, v116
	v_mul_f32_e32 v116, v162, v116
	v_fma_f32 v116, v161, v117, -v116
	v_mul_f32_e32 v117, v162, v119
	v_fmac_f32_e32 v117, v161, v118
	v_mul_f32_e32 v118, v162, v118
	v_fma_f32 v118, v161, v119, -v118
	s_waitcnt lgkmcnt(6)
	v_mul_f32_e32 v119, v162, v113
	v_fmac_f32_e32 v119, v161, v112
	v_mul_f32_e32 v112, v162, v112
	v_fma_f32 v112, v161, v113, -v112
	v_mul_f32_e32 v113, v162, v115
	v_fmac_f32_e32 v113, v161, v114
	v_mul_f32_e32 v114, v162, v114
	v_fma_f32 v114, v161, v115, -v114
	;; [unrolled: 9-line block ×3, first 2 shown]
	s_waitcnt lgkmcnt(2)
	v_mul_f32_e32 v111, v162, v105
	s_waitcnt lgkmcnt(0)
	v_mul_f32_e32 v177, v162, v101
	v_mul_f32_e32 v181, v162, v79
	v_fmac_f32_e32 v111, v161, v104
	v_mul_f32_e32 v104, v162, v104
	v_fmac_f32_e32 v177, v161, v100
	;; [unrolled: 2-line block ×3, first 2 shown]
	v_mul_f32_e32 v78, v162, v78
	v_fma_f32 v174, v161, v105, -v104
	v_mul_f32_e32 v175, v162, v107
	v_mul_f32_e32 v104, v162, v106
	v_fma_f32 v178, v161, v101, -v100
	v_mul_f32_e32 v179, v162, v103
	v_mul_f32_e32 v100, v162, v102
	v_fma_f32 v192, v161, v79, -v78
	v_fmac_f32_e32 v175, v161, v106
	v_fma_f32 v176, v161, v107, -v104
	v_fmac_f32_e32 v179, v161, v102
	v_fma_f32 v180, v161, v103, -v100
	v_sub_f32_e32 v78, v96, v173
	v_sub_f32_e32 v79, v97, v116
	;; [unrolled: 1-line block ×6, first 2 shown]
	v_fma_f32 v96, v96, 2.0, -v78
	v_fma_f32 v97, v97, 2.0, -v79
	v_sub_f32_e32 v100, v98, v117
	v_sub_f32_e32 v103, v93, v112
	;; [unrolled: 1-line block ×16, first 2 shown]
	v_fma_f32 v116, v76, 2.0, -v118
	v_fma_f32 v117, v77, 2.0, -v119
	;; [unrolled: 1-line block ×20, first 2 shown]
	s_waitcnt lgkmcnt(0)
	; wave barrier
	ds_write2_b64 v182, v[96:97], v[78:79] offset1:2
	ds_write2_b64 v183, v[98:99], v[100:101] offset1:2
	;; [unrolled: 1-line block ×10, first 2 shown]
	s_and_saveexec_b64 s[4:5], s[0:1]
	s_cbranch_execz .LBB0_25
; %bb.24:
	s_movk_i32 s6, 0x4fc
	v_and_or_b32 v76, v171, s6, v170
	v_lshlrev_b32_e32 v76, 3, v76
	ds_write2_b64 v76, v[116:117], v[118:119] offset1:2
.LBB0_25:
	s_or_b64 exec, exec, s[4:5]
	v_add_u32_e32 v76, 0x1000, v167
	s_waitcnt lgkmcnt(0)
	; wave barrier
	s_waitcnt lgkmcnt(0)
	ds_read2_b64 v[92:95], v167 offset1:56
	ds_read2_b64 v[112:115], v76 offset0:76 offset1:132
	ds_read2_b64 v[88:91], v167 offset0:112 offset1:168
	;; [unrolled: 1-line block ×3, first 2 shown]
	v_add_u32_e32 v76, 0x400, v167
	ds_read2_b64 v[80:83], v76 offset0:96 offset1:152
	v_add_u32_e32 v76, 0x1800, v167
	v_add_u32_e32 v77, 0x800, v167
	ds_read2_b64 v[104:107], v76 offset0:44 offset1:100
	ds_read2_b64 v[84:87], v77 offset0:80 offset1:136
	;; [unrolled: 1-line block ×4, first 2 shown]
	v_add_u32_e32 v96, 0x2000, v167
	ds_read2_b64 v[96:99], v96 offset0:12 offset1:68
	s_and_saveexec_b64 s[4:5], s[0:1]
	s_cbranch_execz .LBB0_27
; %bb.26:
	ds_read_b64 v[116:117], v167 offset:4480
	ds_read_b64 v[118:119], v167 offset:9184
.LBB0_27:
	s_or_b64 exec, exec, s[4:5]
	s_waitcnt lgkmcnt(8)
	v_mul_f32_e32 v161, v164, v113
	v_fmac_f32_e32 v161, v163, v112
	v_mul_f32_e32 v112, v164, v112
	v_fma_f32 v112, v163, v113, -v112
	v_mul_f32_e32 v113, v164, v115
	v_fmac_f32_e32 v113, v163, v114
	v_mul_f32_e32 v114, v164, v114
	v_fma_f32 v114, v163, v115, -v114
	s_waitcnt lgkmcnt(6)
	v_mul_f32_e32 v115, v164, v109
	v_fmac_f32_e32 v115, v163, v108
	v_mul_f32_e32 v108, v164, v108
	v_fma_f32 v108, v163, v109, -v108
	v_mul_f32_e32 v109, v164, v111
	v_fmac_f32_e32 v109, v163, v110
	v_mul_f32_e32 v110, v164, v110
	v_fma_f32 v110, v163, v111, -v110
	s_waitcnt lgkmcnt(4)
	v_mul_f32_e32 v111, v164, v105
	s_waitcnt lgkmcnt(2)
	v_mul_f32_e32 v170, v164, v101
	;; [unrolled: 2-line block ×3, first 2 shown]
	v_fmac_f32_e32 v111, v163, v104
	v_mul_f32_e32 v104, v164, v104
	v_fmac_f32_e32 v170, v163, v100
	v_mul_f32_e32 v100, v164, v100
	;; [unrolled: 2-line block ×3, first 2 shown]
	v_fma_f32 v105, v163, v105, -v104
	v_mul_f32_e32 v162, v164, v107
	v_mul_f32_e32 v104, v164, v106
	v_fma_f32 v173, v163, v101, -v100
	v_mul_f32_e32 v174, v164, v103
	v_mul_f32_e32 v100, v164, v102
	;; [unrolled: 3-line block ×3, first 2 shown]
	v_fmac_f32_e32 v162, v163, v106
	v_fma_f32 v107, v163, v107, -v104
	v_fmac_f32_e32 v174, v163, v102
	v_fma_f32 v175, v163, v103, -v100
	;; [unrolled: 2-line block ×3, first 2 shown]
	v_sub_f32_e32 v96, v92, v161
	v_sub_f32_e32 v97, v93, v112
	v_fma_f32 v92, v92, 2.0, -v96
	v_fma_f32 v93, v93, 2.0, -v97
	v_sub_f32_e32 v98, v94, v113
	v_sub_f32_e32 v99, v95, v114
	;; [unrolled: 1-line block ×18, first 2 shown]
	v_fma_f32 v94, v94, 2.0, -v98
	v_fma_f32 v95, v95, 2.0, -v99
	v_fma_f32 v88, v88, 2.0, -v100
	v_fma_f32 v89, v89, 2.0, -v101
	v_fma_f32 v90, v90, 2.0, -v102
	v_fma_f32 v91, v91, 2.0, -v103
	v_fma_f32 v80, v80, 2.0, -v104
	v_fma_f32 v81, v81, 2.0, -v105
	v_fma_f32 v82, v82, 2.0, -v106
	v_fma_f32 v83, v83, 2.0, -v107
	v_fma_f32 v84, v84, 2.0, -v108
	v_fma_f32 v85, v85, 2.0, -v109
	v_fma_f32 v86, v86, 2.0, -v110
	v_fma_f32 v87, v87, 2.0, -v111
	v_fma_f32 v76, v76, 2.0, -v112
	v_fma_f32 v77, v77, 2.0, -v113
	v_fma_f32 v78, v78, 2.0, -v114
	v_fma_f32 v79, v79, 2.0, -v115
	s_waitcnt lgkmcnt(0)
	; wave barrier
	ds_write2_b64 v194, v[92:93], v[96:97] offset1:4
	ds_write2_b64 v195, v[94:95], v[98:99] offset1:4
	;; [unrolled: 1-line block ×10, first 2 shown]
	s_and_saveexec_b64 s[4:5], s[0:1]
	s_cbranch_execz .LBB0_29
; %bb.28:
	v_mul_f32_e32 v76, v164, v118
	v_fma_f32 v76, v163, v119, -v76
	v_sub_f32_e32 v77, v117, v76
	v_mul_f32_e32 v76, v164, v119
	v_fmac_f32_e32 v76, v163, v118
	s_movk_i32 s6, 0x4f8
	v_sub_f32_e32 v76, v116, v76
	v_and_or_b32 v80, v171, s6, v172
	v_fma_f32 v79, v117, 2.0, -v77
	v_fma_f32 v78, v116, 2.0, -v76
	v_lshlrev_b32_e32 v80, 3, v80
	ds_write2_b64 v80, v[78:79], v[76:77] offset1:4
.LBB0_29:
	s_or_b64 exec, exec, s[4:5]
	v_add_u32_e32 v78, 0x800, v167
	s_waitcnt lgkmcnt(0)
	; wave barrier
	s_waitcnt lgkmcnt(0)
	ds_read2_b64 v[87:90], v78 offset0:80 offset1:136
	v_add_u32_e32 v79, 0x1800, v167
	ds_read2_b64 v[83:86], v167 offset1:56
	ds_read2_b64 v[91:94], v79 offset0:16 offset1:72
	ds_read2_b64 v[95:98], v78 offset0:192 offset1:248
	;; [unrolled: 1-line block ×4, first 2 shown]
	v_add_u32_e32 v81, 0x1000, v167
	s_waitcnt lgkmcnt(5)
	v_mul_f32_e32 v119, v1, v90
	v_fmac_f32_e32 v119, v0, v89
	v_mul_f32_e32 v89, v1, v89
	v_fma_f32 v89, v0, v90, -v89
	s_waitcnt lgkmcnt(3)
	v_mul_f32_e32 v90, v3, v92
	v_fmac_f32_e32 v90, v2, v91
	v_mul_f32_e32 v91, v3, v91
	v_fma_f32 v91, v2, v92, -v91
	s_waitcnt lgkmcnt(2)
	v_mul_f32_e32 v92, v1, v96
	ds_read2_b64 v[107:110], v81 offset0:48 offset1:104
	v_fmac_f32_e32 v92, v0, v95
	v_mul_f32_e32 v95, v1, v95
	v_fma_f32 v95, v0, v96, -v95
	v_mul_f32_e32 v96, v3, v94
	v_fmac_f32_e32 v96, v2, v93
	v_mul_f32_e32 v93, v3, v93
	v_fma_f32 v93, v2, v94, -v93
	v_mul_f32_e32 v94, v1, v97
	v_add_u32_e32 v80, 0x400, v167
	v_add_u32_e32 v82, 0x1c00, v167
	v_mul_f32_e32 v172, v1, v98
	v_fma_f32 v98, v0, v98, -v94
	s_waitcnt lgkmcnt(1)
	v_mul_f32_e32 v173, v3, v104
	v_mul_f32_e32 v94, v3, v103
	ds_read2_b64 v[111:114], v80 offset0:96 offset1:152
	ds_read2_b64 v[115:118], v82 offset0:112 offset1:168
	;; [unrolled: 1-line block ×3, first 2 shown]
	ds_read_b64 v[170:171], v167 offset:8960
	v_fmac_f32_e32 v173, v2, v103
	v_fma_f32 v103, v2, v104, -v94
	s_waitcnt lgkmcnt(4)
	v_mul_f32_e32 v104, v1, v108
	v_mul_f32_e32 v94, v1, v107
	v_fmac_f32_e32 v104, v0, v107
	v_fma_f32 v107, v0, v108, -v94
	v_mul_f32_e32 v108, v3, v106
	v_mul_f32_e32 v94, v3, v105
	v_fmac_f32_e32 v108, v2, v105
	v_fma_f32 v105, v2, v106, -v94
	v_mul_f32_e32 v94, v1, v109
	v_mul_f32_e32 v174, v1, v110
	v_fma_f32 v110, v0, v110, -v94
	s_waitcnt lgkmcnt(2)
	v_mul_f32_e32 v175, v3, v116
	v_mul_f32_e32 v94, v3, v115
	v_fmac_f32_e32 v175, v2, v115
	v_fma_f32 v115, v2, v116, -v94
	s_waitcnt lgkmcnt(1)
	v_mul_f32_e32 v116, v1, v162
	v_mul_f32_e32 v94, v1, v161
	;; [unrolled: 1-line block ×4, first 2 shown]
	v_fmac_f32_e32 v172, v0, v97
	v_fmac_f32_e32 v174, v0, v109
	;; [unrolled: 1-line block ×3, first 2 shown]
	v_fma_f32 v161, v0, v162, -v94
	v_mul_f32_e32 v162, v3, v118
	v_mul_f32_e32 v94, v3, v117
	v_fmac_f32_e32 v176, v0, v163
	v_fma_f32 v163, v0, v164, -v1
	s_waitcnt lgkmcnt(0)
	v_mul_f32_e32 v164, v3, v171
	v_mul_f32_e32 v0, v3, v170
	v_add_f32_e32 v1, v119, v90
	v_fmac_f32_e32 v162, v2, v117
	v_fma_f32 v117, v2, v118, -v94
	v_fmac_f32_e32 v164, v2, v170
	v_fma_f32 v170, v2, v171, -v0
	v_fma_f32 v2, -0.5, v1, v83
	v_add_f32_e32 v3, v89, v91
	v_add_f32_e32 v0, v83, v119
	v_sub_f32_e32 v1, v89, v91
	v_mov_b32_e32 v83, v2
	v_fma_f32 v3, -0.5, v3, v84
	v_add_f32_e32 v0, v0, v90
	v_fmac_f32_e32 v83, 0xbf5db3d7, v1
	v_fmac_f32_e32 v2, 0x3f5db3d7, v1
	v_add_f32_e32 v1, v84, v89
	v_sub_f32_e32 v89, v119, v90
	v_mov_b32_e32 v84, v3
	v_add_f32_e32 v90, v92, v96
	v_fmac_f32_e32 v84, 0x3f5db3d7, v89
	v_fmac_f32_e32 v3, 0xbf5db3d7, v89
	v_add_f32_e32 v89, v85, v92
	v_fma_f32 v85, -0.5, v90, v85
	v_add_f32_e32 v1, v1, v91
	v_sub_f32_e32 v90, v95, v93
	v_mov_b32_e32 v91, v85
	v_fmac_f32_e32 v91, 0xbf5db3d7, v90
	v_fmac_f32_e32 v85, 0x3f5db3d7, v90
	v_add_f32_e32 v90, v86, v95
	v_add_f32_e32 v90, v90, v93
	;; [unrolled: 1-line block ×5, first 2 shown]
	v_fmac_f32_e32 v86, -0.5, v93
	v_sub_f32_e32 v93, v92, v96
	v_fma_f32 v95, -0.5, v94, v99
	v_add_f32_e32 v96, v98, v103
	v_mov_b32_e32 v92, v86
	v_sub_f32_e32 v94, v98, v103
	v_mov_b32_e32 v97, v95
	v_fma_f32 v96, -0.5, v96, v100
	v_fmac_f32_e32 v92, 0x3f5db3d7, v93
	v_fmac_f32_e32 v86, 0xbf5db3d7, v93
	v_add_f32_e32 v93, v99, v172
	v_fmac_f32_e32 v97, 0xbf5db3d7, v94
	v_fmac_f32_e32 v95, 0x3f5db3d7, v94
	v_add_f32_e32 v94, v100, v98
	v_sub_f32_e32 v99, v172, v173
	v_mov_b32_e32 v98, v96
	v_add_f32_e32 v100, v104, v108
	v_fmac_f32_e32 v98, 0x3f5db3d7, v99
	v_fmac_f32_e32 v96, 0xbf5db3d7, v99
	v_add_f32_e32 v99, v101, v104
	v_fma_f32 v101, -0.5, v100, v101
	v_add_f32_e32 v94, v94, v103
	v_sub_f32_e32 v100, v107, v105
	v_mov_b32_e32 v103, v101
	v_fmac_f32_e32 v103, 0xbf5db3d7, v100
	v_fmac_f32_e32 v101, 0x3f5db3d7, v100
	v_add_f32_e32 v100, v102, v107
	v_add_f32_e32 v100, v100, v105
	;; [unrolled: 1-line block ×5, first 2 shown]
	v_fmac_f32_e32 v102, -0.5, v105
	v_sub_f32_e32 v105, v104, v108
	v_fma_f32 v107, -0.5, v106, v111
	v_add_f32_e32 v108, v110, v115
	v_mov_b32_e32 v104, v102
	v_sub_f32_e32 v106, v110, v115
	v_mov_b32_e32 v109, v107
	v_fma_f32 v108, -0.5, v108, v112
	v_fmac_f32_e32 v104, 0x3f5db3d7, v105
	v_fmac_f32_e32 v102, 0xbf5db3d7, v105
	v_add_f32_e32 v105, v111, v174
	v_fmac_f32_e32 v109, 0xbf5db3d7, v106
	v_fmac_f32_e32 v107, 0x3f5db3d7, v106
	v_add_f32_e32 v106, v112, v110
	v_sub_f32_e32 v111, v174, v175
	v_mov_b32_e32 v110, v108
	v_add_f32_e32 v112, v116, v162
	v_fmac_f32_e32 v110, 0x3f5db3d7, v111
	v_fmac_f32_e32 v108, 0xbf5db3d7, v111
	v_add_f32_e32 v111, v113, v116
	v_fma_f32 v113, -0.5, v112, v113
	v_add_f32_e32 v106, v106, v115
	v_sub_f32_e32 v112, v161, v117
	v_mov_b32_e32 v115, v113
	v_fmac_f32_e32 v115, 0xbf5db3d7, v112
	v_fmac_f32_e32 v113, 0x3f5db3d7, v112
	v_add_f32_e32 v112, v114, v161
	v_add_f32_e32 v112, v112, v117
	;; [unrolled: 1-line block ×3, first 2 shown]
	v_fmac_f32_e32 v114, -0.5, v117
	v_sub_f32_e32 v117, v116, v162
	v_mov_b32_e32 v116, v114
	v_add_f32_e32 v118, v176, v164
	v_fmac_f32_e32 v116, 0x3f5db3d7, v117
	v_fmac_f32_e32 v114, 0xbf5db3d7, v117
	v_add_f32_e32 v117, v87, v176
	v_fma_f32 v87, -0.5, v118, v87
	v_sub_f32_e32 v118, v163, v170
	v_mov_b32_e32 v161, v87
	v_add_f32_e32 v119, v163, v170
	v_fmac_f32_e32 v161, 0xbf5db3d7, v118
	v_fmac_f32_e32 v87, 0x3f5db3d7, v118
	v_add_f32_e32 v118, v88, v163
	v_fmac_f32_e32 v88, -0.5, v119
	v_add_f32_e32 v111, v111, v162
	v_sub_f32_e32 v119, v176, v164
	v_mov_b32_e32 v162, v88
	v_add_f32_e32 v93, v93, v173
	v_add_f32_e32 v105, v105, v175
	;; [unrolled: 1-line block ×4, first 2 shown]
	v_fmac_f32_e32 v162, 0x3f5db3d7, v119
	v_fmac_f32_e32 v88, 0xbf5db3d7, v119
	s_waitcnt lgkmcnt(0)
	; wave barrier
	ds_write2_b64 v204, v[0:1], v[83:84] offset1:8
	ds_write_b64 v204, v[2:3] offset:128
	ds_write2_b64 v205, v[89:90], v[91:92] offset1:8
	ds_write_b64 v205, v[85:86] offset:128
	;; [unrolled: 2-line block ×7, first 2 shown]
	s_waitcnt lgkmcnt(0)
	; wave barrier
	s_waitcnt lgkmcnt(0)
	ds_read2_b64 v[0:3], v167 offset1:56
	ds_read2_b64 v[83:86], v167 offset0:112 offset1:168
	ds_read2_b64 v[87:90], v78 offset0:80 offset1:136
	;; [unrolled: 1-line block ×9, first 2 shown]
	ds_read_b64 v[161:162], v167 offset:8960
	s_waitcnt lgkmcnt(9)
	v_mul_f32_e32 v119, v13, v86
	v_mul_f32_e32 v13, v13, v85
	v_fmac_f32_e32 v119, v12, v85
	v_fma_f32 v12, v12, v86, -v13
	s_waitcnt lgkmcnt(8)
	v_mul_f32_e32 v13, v15, v88
	v_mul_f32_e32 v15, v15, v87
	v_fmac_f32_e32 v13, v14, v87
	v_fma_f32 v14, v14, v88, -v15
	s_waitcnt lgkmcnt(7)
	v_mul_f32_e32 v15, v5, v94
	v_mul_f32_e32 v5, v5, v93
	v_fmac_f32_e32 v15, v4, v93
	v_fma_f32 v4, v4, v94, -v5
	s_waitcnt lgkmcnt(6)
	v_mul_f32_e32 v5, v7, v96
	v_mul_f32_e32 v7, v7, v95
	v_fmac_f32_e32 v5, v6, v95
	v_fma_f32 v6, v6, v96, -v7
	s_waitcnt lgkmcnt(5)
	v_mul_f32_e32 v7, v33, v102
	v_mul_f32_e32 v33, v33, v101
	v_fmac_f32_e32 v7, v32, v101
	v_fma_f32 v32, v32, v102, -v33
	s_waitcnt lgkmcnt(4)
	v_mul_f32_e32 v33, v35, v104
	v_mul_f32_e32 v35, v35, v103
	v_fmac_f32_e32 v33, v34, v103
	v_fma_f32 v34, v34, v104, -v35
	s_waitcnt lgkmcnt(3)
	v_mul_f32_e32 v35, v25, v108
	v_mul_f32_e32 v25, v25, v107
	v_fmac_f32_e32 v35, v24, v107
	v_fma_f32 v24, v24, v108, -v25
	v_mul_f32_e32 v25, v27, v90
	v_mul_f32_e32 v27, v27, v89
	v_fmac_f32_e32 v25, v26, v89
	v_fma_f32 v26, v26, v90, -v27
	s_waitcnt lgkmcnt(2)
	v_mul_f32_e32 v27, v17, v112
	v_mul_f32_e32 v17, v17, v111
	v_fmac_f32_e32 v27, v16, v111
	v_fma_f32 v16, v16, v112, -v17
	v_mul_f32_e32 v17, v19, v98
	v_mul_f32_e32 v19, v19, v97
	v_fmac_f32_e32 v17, v18, v97
	v_fma_f32 v18, v18, v98, -v19
	s_waitcnt lgkmcnt(1)
	v_mul_f32_e32 v19, v9, v116
	v_mul_f32_e32 v9, v9, v115
	v_fmac_f32_e32 v19, v8, v115
	v_fma_f32 v85, v8, v116, -v9
	v_mul_f32_e32 v8, v11, v105
	v_fma_f32 v87, v10, v106, -v8
	v_mul_f32_e32 v88, v37, v110
	v_mul_f32_e32 v8, v37, v109
	v_fmac_f32_e32 v88, v36, v109
	v_fma_f32 v36, v36, v110, -v8
	v_mul_f32_e32 v37, v39, v92
	v_mul_f32_e32 v8, v39, v91
	v_fmac_f32_e32 v37, v38, v91
	;; [unrolled: 4-line block ×4, first 2 shown]
	v_fma_f32 v30, v30, v100, -v8
	v_mul_f32_e32 v8, v21, v117
	v_fma_f32 v89, v20, v118, -v8
	s_waitcnt lgkmcnt(0)
	v_mul_f32_e32 v8, v23, v161
	v_mul_f32_e32 v86, v11, v106
	;; [unrolled: 1-line block ×3, first 2 shown]
	v_fma_f32 v91, v22, v162, -v8
	v_add_f32_e32 v8, v119, v33
	v_add_f32_e32 v9, v12, v34
	v_sub_f32_e32 v11, v12, v34
	v_add_f32_e32 v12, v13, v7
	v_fmac_f32_e32 v31, v20, v117
	v_add_f32_e32 v20, v14, v32
	v_sub_f32_e32 v7, v13, v7
	v_sub_f32_e32 v13, v14, v32
	v_add_f32_e32 v14, v15, v5
	v_add_f32_e32 v21, v4, v6
	v_sub_f32_e32 v4, v6, v4
	v_add_f32_e32 v6, v12, v8
	v_mul_f32_e32 v90, v23, v162
	v_sub_f32_e32 v5, v5, v15
	v_add_f32_e32 v15, v20, v9
	v_add_f32_e32 v6, v14, v6
	v_fmac_f32_e32 v90, v22, v161
	v_sub_f32_e32 v22, v12, v8
	v_sub_f32_e32 v8, v8, v14
	;; [unrolled: 1-line block ×3, first 2 shown]
	v_add_f32_e32 v14, v21, v15
	v_add_f32_e32 v0, v0, v6
	v_mad_u64_u32 v[76:77], s[4:5], s10, v150, 0
	v_fmac_f32_e32 v86, v10, v105
	v_sub_f32_e32 v10, v119, v33
	v_sub_f32_e32 v23, v20, v9
	;; [unrolled: 1-line block ×4, first 2 shown]
	v_add_f32_e32 v32, v5, v7
	v_add_f32_e32 v33, v4, v13
	v_sub_f32_e32 v34, v5, v7
	v_sub_f32_e32 v92, v4, v13
	v_sub_f32_e32 v13, v13, v11
	v_add_f32_e32 v1, v1, v14
	v_mov_b32_e32 v93, v0
	v_sub_f32_e32 v5, v10, v5
	v_sub_f32_e32 v4, v11, v4
	v_sub_f32_e32 v7, v7, v10
	v_add_f32_e32 v10, v32, v10
	v_add_f32_e32 v11, v33, v11
	v_mul_f32_e32 v8, 0x3f4a47b2, v8
	v_mul_f32_e32 v9, 0x3f4a47b2, v9
	;; [unrolled: 1-line block ×6, first 2 shown]
	s_mov_b32 s4, 0xbf5ff5aa
	v_mul_f32_e32 v92, 0xbf5ff5aa, v13
	v_fmac_f32_e32 v93, 0xbf955555, v6
	v_mov_b32_e32 v6, v1
	s_mov_b32 s6, 0x3f3bfb3b
	s_mov_b32 s5, 0xbf3bfb3b
	;; [unrolled: 1-line block ×3, first 2 shown]
	v_fmac_f32_e32 v6, 0xbf955555, v14
	v_fma_f32 v14, v22, s6, -v15
	v_fma_f32 v15, v23, s6, -v21
	;; [unrolled: 1-line block ×3, first 2 shown]
	v_fmac_f32_e32 v8, 0x3d64c772, v12
	v_fma_f32 v12, v23, s5, -v9
	v_fmac_f32_e32 v9, 0x3d64c772, v20
	v_fma_f32 v20, v7, s4, -v32
	v_fma_f32 v23, v4, s7, -v92
	v_mul_f32_e32 v34, 0xbf5ff5aa, v7
	v_fmac_f32_e32 v32, 0xbeae86e6, v5
	v_fma_f32 v13, v13, s4, -v33
	v_fmac_f32_e32 v33, 0xbeae86e6, v4
	v_add_f32_e32 v15, v15, v6
	v_add_f32_e32 v21, v21, v93
	v_fmac_f32_e32 v20, 0xbee1c552, v10
	v_fmac_f32_e32 v23, 0xbee1c552, v11
	v_fma_f32 v22, v5, s7, -v34
	v_add_f32_e32 v34, v8, v93
	v_add_f32_e32 v92, v9, v6
	;; [unrolled: 1-line block ×4, first 2 shown]
	v_fmac_f32_e32 v32, 0xbee1c552, v10
	v_fmac_f32_e32 v33, 0xbee1c552, v11
	;; [unrolled: 1-line block ×3, first 2 shown]
	v_add_f32_e32 v6, v23, v21
	v_add_f32_e32 v9, v20, v15
	v_sub_f32_e32 v11, v15, v20
	v_sub_f32_e32 v12, v21, v23
	v_add_f32_e32 v20, v35, v86
	v_add_f32_e32 v21, v24, v87
	v_sub_f32_e32 v23, v24, v87
	v_add_f32_e32 v24, v25, v19
	v_fmac_f32_e32 v22, 0xbee1c552, v10
	v_add_f32_e32 v4, v33, v34
	v_sub_f32_e32 v5, v92, v32
	v_sub_f32_e32 v8, v14, v13
	v_add_f32_e32 v10, v13, v14
	v_sub_f32_e32 v14, v34, v33
	v_add_f32_e32 v15, v32, v92
	v_add_f32_e32 v32, v26, v85
	v_sub_f32_e32 v19, v25, v19
	v_sub_f32_e32 v25, v26, v85
	v_add_f32_e32 v26, v27, v17
	v_add_f32_e32 v33, v16, v18
	v_sub_f32_e32 v16, v18, v16
	v_add_f32_e32 v18, v24, v20
	v_sub_f32_e32 v17, v17, v27
	v_add_f32_e32 v27, v32, v21
	v_add_f32_e32 v18, v26, v18
	v_sub_f32_e32 v34, v24, v20
	v_sub_f32_e32 v20, v20, v26
	;; [unrolled: 1-line block ×3, first 2 shown]
	v_add_f32_e32 v26, v33, v27
	v_add_f32_e32 v2, v2, v18
	v_sub_f32_e32 v7, v93, v22
	v_add_f32_e32 v13, v22, v93
	v_sub_f32_e32 v22, v35, v86
	v_sub_f32_e32 v35, v32, v21
	;; [unrolled: 1-line block ×4, first 2 shown]
	v_add_f32_e32 v85, v17, v19
	v_add_f32_e32 v86, v16, v25
	v_sub_f32_e32 v87, v17, v19
	v_sub_f32_e32 v92, v16, v25
	;; [unrolled: 1-line block ×3, first 2 shown]
	v_add_f32_e32 v3, v3, v26
	v_mov_b32_e32 v93, v2
	v_sub_f32_e32 v17, v22, v17
	v_sub_f32_e32 v16, v23, v16
	;; [unrolled: 1-line block ×3, first 2 shown]
	v_add_f32_e32 v22, v85, v22
	v_add_f32_e32 v23, v86, v23
	v_mul_f32_e32 v20, 0x3f4a47b2, v20
	v_mul_f32_e32 v21, 0x3f4a47b2, v21
	v_mul_f32_e32 v27, 0x3d64c772, v24
	v_mul_f32_e32 v33, 0x3d64c772, v32
	v_mul_f32_e32 v85, 0x3f08b237, v87
	v_mul_f32_e32 v86, 0x3f08b237, v92
	v_mul_f32_e32 v92, 0xbf5ff5aa, v25
	v_fmac_f32_e32 v93, 0xbf955555, v18
	v_mov_b32_e32 v18, v3
	v_fmac_f32_e32 v18, 0xbf955555, v26
	v_fma_f32 v26, v34, s6, -v27
	v_fma_f32 v27, v35, s6, -v33
	;; [unrolled: 1-line block ×3, first 2 shown]
	v_fmac_f32_e32 v20, 0x3d64c772, v24
	v_fma_f32 v24, v35, s5, -v21
	v_fmac_f32_e32 v21, 0x3d64c772, v32
	v_fma_f32 v32, v19, s4, -v85
	v_fma_f32 v35, v16, s7, -v92
	v_mul_f32_e32 v87, 0xbf5ff5aa, v19
	v_fmac_f32_e32 v85, 0xbeae86e6, v17
	v_fma_f32 v25, v25, s4, -v86
	v_fmac_f32_e32 v86, 0xbeae86e6, v16
	v_add_f32_e32 v27, v27, v18
	v_add_f32_e32 v33, v33, v93
	v_fmac_f32_e32 v32, 0xbee1c552, v22
	v_fmac_f32_e32 v35, 0xbee1c552, v23
	v_fma_f32 v34, v17, s7, -v87
	v_add_f32_e32 v87, v20, v93
	v_add_f32_e32 v92, v21, v18
	;; [unrolled: 1-line block ×4, first 2 shown]
	v_fmac_f32_e32 v85, 0xbee1c552, v22
	v_fmac_f32_e32 v86, 0xbee1c552, v23
	;; [unrolled: 1-line block ×3, first 2 shown]
	v_add_f32_e32 v18, v35, v33
	v_add_f32_e32 v21, v32, v27
	v_sub_f32_e32 v23, v27, v32
	v_sub_f32_e32 v24, v33, v35
	v_add_f32_e32 v32, v88, v90
	v_add_f32_e32 v33, v36, v91
	v_sub_f32_e32 v35, v36, v91
	v_add_f32_e32 v36, v37, v31
	v_fmac_f32_e32 v34, 0xbee1c552, v22
	v_add_f32_e32 v16, v86, v87
	v_sub_f32_e32 v17, v92, v85
	v_sub_f32_e32 v20, v26, v25
	v_add_f32_e32 v22, v25, v26
	v_sub_f32_e32 v26, v87, v86
	v_add_f32_e32 v27, v85, v92
	v_add_f32_e32 v85, v38, v89
	v_sub_f32_e32 v31, v37, v31
	v_sub_f32_e32 v37, v38, v89
	v_add_f32_e32 v38, v39, v29
	v_add_f32_e32 v86, v28, v30
	v_sub_f32_e32 v28, v30, v28
	v_add_f32_e32 v30, v36, v32
	v_sub_f32_e32 v29, v29, v39
	v_add_f32_e32 v39, v85, v33
	v_add_f32_e32 v30, v38, v30
	v_sub_f32_e32 v19, v93, v34
	v_add_f32_e32 v25, v34, v93
	v_sub_f32_e32 v34, v88, v90
	v_sub_f32_e32 v87, v36, v32
	v_sub_f32_e32 v32, v32, v38
	v_sub_f32_e32 v36, v38, v36
	v_add_f32_e32 v90, v28, v37
	v_sub_f32_e32 v91, v29, v31
	v_sub_f32_e32 v92, v28, v37
	;; [unrolled: 1-line block ×3, first 2 shown]
	v_add_f32_e32 v38, v86, v39
	v_add_f32_e32 v28, v83, v30
	v_sub_f32_e32 v88, v85, v33
	v_sub_f32_e32 v33, v33, v86
	;; [unrolled: 1-line block ×3, first 2 shown]
	v_add_f32_e32 v89, v29, v31
	v_sub_f32_e32 v93, v34, v29
	v_sub_f32_e32 v31, v31, v34
	v_sub_f32_e32 v37, v37, v35
	v_add_f32_e32 v29, v84, v38
	v_mul_f32_e32 v84, 0x3f08b237, v91
	v_mov_b32_e32 v91, v28
	v_add_f32_e32 v34, v89, v34
	v_add_f32_e32 v35, v90, v35
	v_mul_f32_e32 v32, 0x3f4a47b2, v32
	v_mul_f32_e32 v33, 0x3f4a47b2, v33
	;; [unrolled: 1-line block ×7, first 2 shown]
	v_fmac_f32_e32 v91, 0xbf955555, v30
	v_mov_b32_e32 v30, v29
	v_fmac_f32_e32 v30, 0xbf955555, v38
	v_fma_f32 v38, v87, s6, -v39
	v_fma_f32 v39, v88, s6, -v83
	;; [unrolled: 1-line block ×3, first 2 shown]
	v_fmac_f32_e32 v32, 0x3d64c772, v36
	v_fma_f32 v36, v88, s5, -v33
	v_fmac_f32_e32 v33, 0x3d64c772, v85
	v_fma_f32 v85, v31, s4, -v84
	;; [unrolled: 2-line block ×4, first 2 shown]
	v_fma_f32 v88, v94, s7, -v90
	v_add_f32_e32 v89, v32, v91
	v_add_f32_e32 v90, v33, v30
	;; [unrolled: 1-line block ×6, first 2 shown]
	v_fmac_f32_e32 v84, 0xbee1c552, v34
	v_fmac_f32_e32 v86, 0xbee1c552, v35
	;; [unrolled: 1-line block ×6, first 2 shown]
	v_add_f32_e32 v30, v86, v89
	v_sub_f32_e32 v31, v90, v84
	v_add_f32_e32 v32, v88, v83
	v_sub_f32_e32 v33, v91, v87
	v_sub_f32_e32 v34, v38, v37
	v_add_f32_e32 v35, v85, v39
	v_add_f32_e32 v36, v37, v38
	v_sub_f32_e32 v37, v39, v85
	v_sub_f32_e32 v38, v83, v88
	v_add_f32_e32 v39, v87, v91
	v_sub_f32_e32 v83, v89, v86
	v_add_f32_e32 v84, v84, v90
	s_waitcnt lgkmcnt(0)
	; wave barrier
	ds_write2_b64 v211, v[0:1], v[4:5] offset1:24
	ds_write2_b64 v211, v[6:7], v[8:9] offset0:48 offset1:72
	ds_write2_b64 v211, v[10:11], v[12:13] offset0:96 offset1:120
	ds_write_b64 v211, v[14:15] offset:1152
	ds_write2_b64 v212, v[2:3], v[16:17] offset1:24
	ds_write2_b64 v212, v[18:19], v[20:21] offset0:48 offset1:72
	ds_write2_b64 v212, v[22:23], v[24:25] offset0:96 offset1:120
	ds_write_b64 v212, v[26:27] offset:1152
	;; [unrolled: 4-line block ×3, first 2 shown]
	s_waitcnt lgkmcnt(0)
	; wave barrier
	s_waitcnt lgkmcnt(0)
	ds_read2_b64 v[0:3], v167 offset1:56
	ds_read2_b64 v[4:7], v167 offset0:112 offset1:168
	ds_read2_b64 v[8:11], v78 offset0:80 offset1:136
	;; [unrolled: 1-line block ×9, first 2 shown]
	ds_read_b64 v[82:83], v167 offset:8960
	s_waitcnt lgkmcnt(9)
	v_mul_f32_e32 v84, v57, v7
	v_fmac_f32_e32 v84, v56, v6
	v_mul_f32_e32 v6, v57, v6
	v_fma_f32 v6, v56, v7, -v6
	s_waitcnt lgkmcnt(8)
	v_mul_f32_e32 v7, v59, v9
	v_fmac_f32_e32 v7, v58, v8
	v_mul_f32_e32 v8, v59, v8
	v_fma_f32 v8, v58, v9, -v8
	;; [unrolled: 5-line block ×7, first 2 shown]
	v_mul_f32_e32 v29, v67, v11
	v_fmac_f32_e32 v29, v66, v10
	v_mul_f32_e32 v10, v67, v10
	v_fma_f32 v40, v66, v11, -v10
	s_waitcnt lgkmcnt(2)
	v_mul_f32_e32 v41, v53, v33
	v_mul_f32_e32 v10, v53, v32
	v_fmac_f32_e32 v41, v52, v32
	v_fma_f32 v32, v52, v33, -v10
	v_mul_f32_e32 v33, v55, v19
	v_mul_f32_e32 v10, v55, v18
	v_fmac_f32_e32 v33, v54, v18
	v_fma_f32 v18, v54, v19, -v10
	s_waitcnt lgkmcnt(1)
	v_mul_f32_e32 v19, v45, v37
	v_mul_f32_e32 v10, v45, v36
	v_fmac_f32_e32 v19, v44, v36
	v_fma_f32 v36, v44, v37, -v10
	v_mul_f32_e32 v37, v47, v27
	v_mul_f32_e32 v10, v47, v26
	v_fmac_f32_e32 v37, v46, v26
	v_fma_f32 v26, v46, v27, -v10
	;; [unrolled: 4-line block ×3, first 2 shown]
	v_mul_f32_e32 v10, v75, v12
	v_fma_f32 v43, v74, v13, -v10
	v_mul_f32_e32 v44, v69, v35
	v_mul_f32_e32 v10, v69, v34
	v_fmac_f32_e32 v44, v68, v34
	v_fma_f32 v34, v68, v35, -v10
	v_mul_f32_e32 v10, v71, v20
	v_fma_f32 v45, v70, v21, -v10
	v_mul_f32_e32 v46, v61, v39
	v_mul_f32_e32 v10, v61, v38
	v_fmac_f32_e32 v46, v60, v38
	v_fma_f32 v38, v60, v39, -v10
	s_waitcnt lgkmcnt(0)
	v_mul_f32_e32 v10, v63, v82
	v_mul_f32_e32 v31, v75, v13
	;; [unrolled: 1-line block ×3, first 2 shown]
	v_fma_f32 v47, v62, v83, -v10
	v_add_f32_e32 v10, v84, v23
	v_add_f32_e32 v13, v7, v17
	v_fmac_f32_e32 v35, v70, v20
	v_add_f32_e32 v11, v6, v24
	v_add_f32_e32 v20, v8, v22
	v_sub_f32_e32 v7, v7, v17
	v_add_f32_e32 v17, v9, v15
	v_sub_f32_e32 v9, v15, v9
	v_add_f32_e32 v15, v13, v10
	v_add_f32_e32 v21, v14, v16
	v_sub_f32_e32 v14, v16, v14
	v_add_f32_e32 v16, v20, v11
	v_add_f32_e32 v15, v17, v15
	;; [unrolled: 1-line block ×4, first 2 shown]
	v_fmac_f32_e32 v31, v74, v12
	v_sub_f32_e32 v12, v84, v23
	v_sub_f32_e32 v6, v6, v24
	;; [unrolled: 1-line block ×9, first 2 shown]
	v_add_f32_e32 v24, v9, v7
	v_sub_f32_e32 v48, v9, v7
	v_add_f32_e32 v1, v1, v16
	v_mov_b32_e32 v50, v0
	v_add_f32_e32 v27, v14, v8
	v_sub_f32_e32 v49, v14, v8
	v_sub_f32_e32 v9, v12, v9
	;; [unrolled: 1-line block ×4, first 2 shown]
	v_add_f32_e32 v12, v24, v12
	v_mul_f32_e32 v10, 0x3f4a47b2, v10
	v_mul_f32_e32 v11, 0x3f4a47b2, v11
	;; [unrolled: 1-line block ×5, first 2 shown]
	v_fmac_f32_e32 v50, 0xbf955555, v15
	v_mov_b32_e32 v15, v1
	v_sub_f32_e32 v14, v6, v14
	v_add_f32_e32 v6, v27, v6
	v_mul_f32_e32 v27, 0x3f08b237, v49
	v_mul_f32_e32 v48, 0xbf5ff5aa, v7
	;; [unrolled: 1-line block ×3, first 2 shown]
	v_fmac_f32_e32 v15, 0xbf955555, v16
	v_fma_f32 v16, v22, s6, -v17
	v_fma_f32 v17, v23, s6, -v21
	;; [unrolled: 1-line block ×3, first 2 shown]
	v_fmac_f32_e32 v10, 0x3d64c772, v13
	v_fma_f32 v13, v23, s5, -v11
	v_fmac_f32_e32 v11, 0x3d64c772, v20
	v_fma_f32 v20, v7, s4, -v24
	v_fmac_f32_e32 v24, 0xbeae86e6, v9
	v_fma_f32 v22, v8, s4, -v27
	v_fmac_f32_e32 v27, 0xbeae86e6, v14
	v_fma_f32 v23, v9, s7, -v48
	v_fma_f32 v14, v14, s7, -v49
	v_add_f32_e32 v49, v11, v15
	v_add_f32_e32 v17, v17, v15
	v_fmac_f32_e32 v24, 0xbee1c552, v12
	v_fmac_f32_e32 v20, 0xbee1c552, v12
	v_add_f32_e32 v48, v10, v50
	v_add_f32_e32 v16, v16, v50
	;; [unrolled: 1-line block ×4, first 2 shown]
	v_fmac_f32_e32 v27, 0xbee1c552, v6
	v_fmac_f32_e32 v22, 0xbee1c552, v6
	;; [unrolled: 1-line block ×4, first 2 shown]
	v_sub_f32_e32 v7, v49, v24
	v_add_f32_e32 v11, v20, v17
	v_sub_f32_e32 v13, v17, v20
	v_add_f32_e32 v17, v24, v49
	v_add_f32_e32 v20, v25, v37
	;; [unrolled: 1-line block ×5, first 2 shown]
	v_sub_f32_e32 v9, v15, v23
	v_sub_f32_e32 v10, v16, v22
	v_add_f32_e32 v12, v22, v16
	v_sub_f32_e32 v14, v21, v14
	v_add_f32_e32 v15, v23, v15
	;; [unrolled: 2-line block ×3, first 2 shown]
	v_sub_f32_e32 v22, v25, v37
	v_sub_f32_e32 v23, v28, v26
	v_add_f32_e32 v25, v40, v36
	v_add_f32_e32 v27, v41, v33
	;; [unrolled: 1-line block ×3, first 2 shown]
	v_sub_f32_e32 v18, v18, v32
	v_add_f32_e32 v32, v24, v20
	v_sub_f32_e32 v19, v29, v19
	v_sub_f32_e32 v26, v40, v36
	v_sub_f32_e32 v29, v33, v41
	v_add_f32_e32 v33, v25, v21
	v_sub_f32_e32 v36, v24, v20
	v_sub_f32_e32 v20, v20, v27
	;; [unrolled: 4-line block ×3, first 2 shown]
	v_sub_f32_e32 v25, v28, v25
	v_add_f32_e32 v28, v28, v33
	v_add_f32_e32 v2, v2, v27
	;; [unrolled: 1-line block ×4, first 2 shown]
	v_sub_f32_e32 v48, v29, v19
	v_sub_f32_e32 v49, v18, v26
	v_add_f32_e32 v3, v3, v28
	v_mov_b32_e32 v50, v2
	v_sub_f32_e32 v29, v22, v29
	v_sub_f32_e32 v18, v23, v18
	;; [unrolled: 1-line block ×4, first 2 shown]
	v_add_f32_e32 v22, v40, v22
	v_add_f32_e32 v23, v41, v23
	v_mul_f32_e32 v20, 0x3f4a47b2, v20
	v_mul_f32_e32 v21, 0x3f4a47b2, v21
	;; [unrolled: 1-line block ×6, first 2 shown]
	v_fmac_f32_e32 v50, 0xbf955555, v27
	v_mov_b32_e32 v27, v3
	v_mul_f32_e32 v39, v63, v83
	v_mul_f32_e32 v48, 0xbf5ff5aa, v19
	;; [unrolled: 1-line block ×3, first 2 shown]
	v_fmac_f32_e32 v27, 0xbf955555, v28
	v_fma_f32 v28, v36, s6, -v32
	v_fma_f32 v32, v37, s6, -v33
	;; [unrolled: 1-line block ×3, first 2 shown]
	v_fmac_f32_e32 v20, 0x3d64c772, v24
	v_fma_f32 v24, v37, s5, -v21
	v_fmac_f32_e32 v21, 0x3d64c772, v25
	v_fma_f32 v25, v19, s4, -v40
	v_fma_f32 v26, v26, s4, -v41
	v_fmac_f32_e32 v41, 0xbeae86e6, v18
	v_fmac_f32_e32 v39, v62, v82
	;; [unrolled: 1-line block ×3, first 2 shown]
	v_fma_f32 v29, v29, s7, -v48
	v_fma_f32 v36, v18, s7, -v49
	v_add_f32_e32 v37, v20, v50
	v_add_f32_e32 v28, v28, v50
	;; [unrolled: 1-line block ×3, first 2 shown]
	v_fmac_f32_e32 v41, 0xbee1c552, v23
	v_fmac_f32_e32 v25, 0xbee1c552, v22
	;; [unrolled: 1-line block ×3, first 2 shown]
	v_add_f32_e32 v48, v21, v27
	v_add_f32_e32 v33, v33, v50
	;; [unrolled: 1-line block ×3, first 2 shown]
	v_fmac_f32_e32 v40, 0xbee1c552, v22
	v_fmac_f32_e32 v29, 0xbee1c552, v22
	;; [unrolled: 1-line block ×3, first 2 shown]
	v_add_f32_e32 v18, v41, v37
	v_sub_f32_e32 v22, v28, v26
	v_add_f32_e32 v23, v25, v32
	v_add_f32_e32 v24, v26, v28
	v_sub_f32_e32 v25, v32, v25
	v_sub_f32_e32 v28, v37, v41
	v_add_f32_e32 v32, v42, v39
	v_add_f32_e32 v37, v31, v46
	v_sub_f32_e32 v19, v48, v40
	v_add_f32_e32 v20, v36, v33
	v_sub_f32_e32 v21, v27, v29
	v_sub_f32_e32 v26, v33, v36
	v_add_f32_e32 v27, v29, v27
	v_add_f32_e32 v29, v40, v48
	;; [unrolled: 1-line block ×3, first 2 shown]
	v_sub_f32_e32 v36, v42, v39
	v_add_f32_e32 v39, v43, v38
	v_add_f32_e32 v40, v44, v35
	;; [unrolled: 1-line block ×3, first 2 shown]
	v_sub_f32_e32 v38, v43, v38
	v_add_f32_e32 v41, v34, v45
	v_sub_f32_e32 v35, v35, v44
	v_add_f32_e32 v43, v39, v33
	v_sub_f32_e32 v44, v37, v32
	v_sub_f32_e32 v32, v32, v40
	;; [unrolled: 1-line block ×3, first 2 shown]
	v_add_f32_e32 v40, v40, v42
	v_sub_f32_e32 v30, v30, v47
	v_sub_f32_e32 v31, v31, v46
	v_sub_f32_e32 v34, v45, v34
	v_sub_f32_e32 v45, v39, v33
	v_sub_f32_e32 v33, v33, v41
	v_sub_f32_e32 v39, v41, v39
	v_add_f32_e32 v41, v41, v43
	v_add_f32_e32 v4, v4, v40
	;; [unrolled: 1-line block ×4, first 2 shown]
	v_sub_f32_e32 v48, v35, v31
	v_sub_f32_e32 v49, v34, v38
	;; [unrolled: 1-line block ×4, first 2 shown]
	v_add_f32_e32 v5, v5, v41
	v_mov_b32_e32 v50, v4
	v_sub_f32_e32 v35, v36, v35
	v_sub_f32_e32 v34, v30, v34
	v_add_f32_e32 v36, v46, v36
	v_add_f32_e32 v30, v47, v30
	v_mul_f32_e32 v32, 0x3f4a47b2, v32
	v_mul_f32_e32 v33, 0x3f4a47b2, v33
	;; [unrolled: 1-line block ×8, first 2 shown]
	v_fmac_f32_e32 v50, 0xbf955555, v40
	v_mov_b32_e32 v40, v5
	v_fmac_f32_e32 v40, 0xbf955555, v41
	v_fma_f32 v41, v44, s6, -v42
	v_fma_f32 v42, v45, s6, -v43
	;; [unrolled: 1-line block ×3, first 2 shown]
	v_fmac_f32_e32 v32, 0x3d64c772, v37
	v_fma_f32 v37, v45, s5, -v33
	v_fmac_f32_e32 v33, 0x3d64c772, v39
	v_fma_f32 v39, v31, s4, -v46
	;; [unrolled: 2-line block ×4, first 2 shown]
	v_fma_f32 v45, v34, s7, -v49
	v_add_f32_e32 v48, v32, v50
	v_add_f32_e32 v49, v33, v40
	;; [unrolled: 1-line block ×6, first 2 shown]
	v_fmac_f32_e32 v46, 0xbee1c552, v36
	v_fmac_f32_e32 v47, 0xbee1c552, v30
	;; [unrolled: 1-line block ×6, first 2 shown]
	v_add_f32_e32 v30, v47, v48
	v_sub_f32_e32 v31, v49, v46
	v_add_f32_e32 v32, v45, v43
	v_sub_f32_e32 v33, v40, v44
	v_sub_f32_e32 v34, v41, v38
	v_add_f32_e32 v35, v39, v42
	v_add_f32_e32 v36, v38, v41
	v_sub_f32_e32 v37, v42, v39
	v_sub_f32_e32 v38, v43, v45
	v_add_f32_e32 v39, v44, v40
	v_sub_f32_e32 v40, v48, v47
	v_add_f32_e32 v41, v46, v49
	ds_write_b64 v167, v[6:7] offset:1344
	ds_write_b64 v167, v[8:9] offset:2688
	;; [unrolled: 1-line block ×6, first 2 shown]
	ds_write2_b64 v167, v[0:1], v[2:3] offset1:56
	ds_write_b64 v167, v[20:21] offset:3136
	ds_write_b64 v167, v[22:23] offset:4480
	;; [unrolled: 1-line block ×6, first 2 shown]
	ds_write2_b64 v80, v[18:19], v[30:31] offset0:96 offset1:152
	ds_write_b64 v167, v[32:33] offset:3584
	ds_write_b64 v167, v[34:35] offset:4928
	;; [unrolled: 1-line block ×5, first 2 shown]
	s_waitcnt lgkmcnt(0)
	; wave barrier
	s_waitcnt lgkmcnt(0)
	ds_read2_b64 v[0:3], v167 offset1:56
	v_mov_b32_e32 v4, v77
	v_mad_u64_u32 v[4:5], s[4:5], s11, v150, v[4:5]
	s_mov_b32 s4, 0x899406f7
	s_waitcnt lgkmcnt(0)
	v_mul_f32_e32 v5, v158, v1
	v_fmac_f32_e32 v5, v157, v0
	v_cvt_f64_f32_e32 v[5:6], v5
	s_mov_b32 s5, 0x3f4bdd2b
	v_mad_u64_u32 v[8:9], s[6:7], s8, v169, 0
	v_mul_f64 v[5:6], v[5:6], s[4:5]
	v_mul_f32_e32 v0, v158, v0
	v_fma_f32 v0, v157, v1, -v0
	v_cvt_f64_f32_e32 v[0:1], v0
	v_mov_b32_e32 v77, v4
	v_mov_b32_e32 v4, v9
	;; [unrolled: 1-line block ×3, first 2 shown]
	v_mul_f64 v[0:1], v[0:1], s[4:5]
	v_mad_u64_u32 v[9:10], s[6:7], s9, v169, v[4:5]
	v_cvt_f32_f64_e32 v10, v[5:6]
	ds_read2_b64 v[4:7], v81 offset0:76 offset1:132
	v_lshlrev_b64 v[8:9], 3, v[8:9]
	s_mul_hi_u32 s3, s8, 0x24c
	s_mul_hi_u32 s7, s8, 0xfffffdec
	v_cvt_f32_f64_e32 v11, v[0:1]
	s_waitcnt lgkmcnt(0)
	v_mul_f32_e32 v12, v156, v5
	v_fmac_f32_e32 v12, v155, v4
	v_mul_f32_e32 v4, v156, v4
	v_fma_f32 v4, v155, v5, -v4
	v_cvt_f64_f32_e32 v[12:13], v12
	v_cvt_f64_f32_e32 v[4:5], v4
	v_lshlrev_b64 v[0:1], 3, v[76:77]
	s_mul_i32 s6, s9, 0xfffffdec
	v_add_co_u32_e32 v16, vcc, s2, v0
	v_addc_co_u32_e32 v17, vcc, v14, v1, vcc
	v_mul_f64 v[0:1], v[12:13], s[4:5]
	v_mul_f64 v[4:5], v[4:5], s[4:5]
	s_mul_i32 s2, s9, 0x24c
	v_add_co_u32_e32 v8, vcc, v16, v8
	s_add_i32 s3, s3, s2
	s_mul_i32 s2, s8, 0x24c
	v_addc_co_u32_e32 v9, vcc, v17, v9, vcc
	v_cvt_f32_f64_e32 v0, v[0:1]
	v_cvt_f32_f64_e32 v1, v[4:5]
	v_mul_f32_e32 v4, v154, v3
	v_fmac_f32_e32 v4, v153, v2
	v_mul_f32_e32 v2, v154, v2
	v_fma_f32 v2, v153, v3, -v2
	v_cvt_f64_f32_e32 v[4:5], v4
	v_cvt_f64_f32_e32 v[2:3], v2
	s_lshl_b64 s[2:3], s[2:3], 3
	global_store_dwordx2 v[8:9], v[10:11], off
	v_mul_f64 v[4:5], v[4:5], s[4:5]
	v_mul_f64 v[2:3], v[2:3], s[4:5]
	v_mov_b32_e32 v18, s3
	v_add_co_u32_e32 v8, vcc, s2, v8
	v_addc_co_u32_e32 v9, vcc, v9, v18, vcc
	global_store_dwordx2 v[8:9], v[0:1], off
	v_mul_f32_e32 v0, v160, v7
	v_fmac_f32_e32 v0, v159, v6
	v_cvt_f64_f32_e32 v[10:11], v0
	v_mul_f32_e32 v0, v160, v6
	v_fma_f32 v0, v159, v7, -v0
	v_cvt_f32_f64_e32 v4, v[4:5]
	v_cvt_f32_f64_e32 v5, v[2:3]
	s_sub_i32 s7, s7, s8
	v_cvt_f64_f32_e32 v[6:7], v0
	ds_read2_b64 v[0:3], v167 offset0:112 offset1:168
	s_add_i32 s7, s7, s6
	s_mul_i32 s6, s8, 0xfffffdec
	s_lshl_b64 s[6:7], s[6:7], 3
	v_mov_b32_e32 v19, s7
	v_add_co_u32_e32 v8, vcc, s6, v8
	v_addc_co_u32_e32 v9, vcc, v9, v19, vcc
	global_store_dwordx2 v[8:9], v[4:5], off
	v_mul_f64 v[4:5], v[10:11], s[4:5]
	s_waitcnt lgkmcnt(0)
	v_mul_f32_e32 v10, v147, v1
	v_fmac_f32_e32 v10, v146, v0
	v_mul_f32_e32 v0, v147, v0
	v_mul_f64 v[6:7], v[6:7], s[4:5]
	v_fma_f32 v0, v146, v1, -v0
	v_cvt_f64_f32_e32 v[10:11], v10
	v_cvt_f64_f32_e32 v[0:1], v0
	v_cvt_f32_f64_e32 v12, v[4:5]
	v_add_co_u32_e32 v8, vcc, s2, v8
	v_mul_f64 v[10:11], v[10:11], s[4:5]
	v_mul_f64 v[0:1], v[0:1], s[4:5]
	v_cvt_f32_f64_e32 v13, v[6:7]
	ds_read2_b64 v[4:7], v81 offset0:188 offset1:244
	v_addc_co_u32_e32 v9, vcc, v9, v18, vcc
	global_store_dwordx2 v[8:9], v[12:13], off
	v_mul_f32_e32 v12, v141, v3
	v_cvt_f32_f64_e32 v10, v[10:11]
	v_cvt_f32_f64_e32 v11, v[0:1]
	s_waitcnt lgkmcnt(0)
	v_mul_f32_e32 v0, v149, v5
	v_fmac_f32_e32 v0, v148, v4
	v_mul_f32_e32 v4, v149, v4
	v_fma_f32 v4, v148, v5, -v4
	v_cvt_f64_f32_e32 v[0:1], v0
	v_cvt_f64_f32_e32 v[4:5], v4
	v_fmac_f32_e32 v12, v140, v2
	v_cvt_f64_f32_e32 v[12:13], v12
	v_mul_f64 v[0:1], v[0:1], s[4:5]
	v_mul_f64 v[4:5], v[4:5], s[4:5]
	v_mul_f32_e32 v2, v141, v2
	v_fma_f32 v2, v140, v3, -v2
	v_add_co_u32_e32 v8, vcc, s6, v8
	v_cvt_f64_f32_e32 v[2:3], v2
	v_addc_co_u32_e32 v9, vcc, v9, v19, vcc
	global_store_dwordx2 v[8:9], v[10:11], off
	v_mul_f64 v[10:11], v[12:13], s[4:5]
	v_cvt_f32_f64_e32 v0, v[0:1]
	v_mul_f64 v[2:3], v[2:3], s[4:5]
	v_cvt_f32_f64_e32 v1, v[4:5]
	v_add_co_u32_e32 v4, vcc, s2, v8
	v_addc_co_u32_e32 v5, vcc, v9, v18, vcc
	global_store_dwordx2 v[4:5], v[0:1], off
	v_mul_f32_e32 v0, v135, v7
	v_fmac_f32_e32 v0, v134, v6
	v_cvt_f32_f64_e32 v8, v[10:11]
	v_cvt_f64_f32_e32 v[10:11], v0
	v_mul_f32_e32 v0, v135, v6
	v_fma_f32 v0, v134, v7, -v0
	v_cvt_f32_f64_e32 v9, v[2:3]
	v_cvt_f64_f32_e32 v[6:7], v0
	ds_read2_b64 v[0:3], v80 offset0:96 offset1:152
	v_add_co_u32_e32 v12, vcc, s6, v4
	v_addc_co_u32_e32 v13, vcc, v5, v19, vcc
	global_store_dwordx2 v[12:13], v[8:9], off
	s_waitcnt lgkmcnt(0)
	v_mul_f32_e32 v8, v143, v1
	v_fmac_f32_e32 v8, v142, v0
	v_mul_f32_e32 v0, v143, v0
	v_mul_f64 v[4:5], v[10:11], s[4:5]
	v_mul_f64 v[6:7], v[6:7], s[4:5]
	v_fma_f32 v0, v142, v1, -v0
	v_cvt_f64_f32_e32 v[8:9], v8
	v_cvt_f64_f32_e32 v[0:1], v0
	v_add_co_u32_e32 v12, vcc, s2, v12
	v_mul_f64 v[8:9], v[8:9], s[4:5]
	v_mul_f64 v[0:1], v[0:1], s[4:5]
	v_cvt_f32_f64_e32 v10, v[4:5]
	v_cvt_f32_f64_e32 v11, v[6:7]
	ds_read2_b64 v[4:7], v79 offset0:44 offset1:100
	v_addc_co_u32_e32 v13, vcc, v13, v18, vcc
	global_store_dwordx2 v[12:13], v[10:11], off
	v_cvt_f32_f64_e32 v8, v[8:9]
	v_cvt_f32_f64_e32 v9, v[0:1]
	s_waitcnt lgkmcnt(0)
	v_mul_f32_e32 v0, v145, v5
	v_fmac_f32_e32 v0, v144, v4
	v_mul_f32_e32 v4, v145, v4
	v_fma_f32 v4, v144, v5, -v4
	v_cvt_f64_f32_e32 v[0:1], v0
	v_cvt_f64_f32_e32 v[4:5], v4
	v_add_co_u32_e32 v10, vcc, s6, v12
	v_mul_f64 v[0:1], v[0:1], s[4:5]
	v_mul_f64 v[4:5], v[4:5], s[4:5]
	v_mul_f32_e32 v12, v152, v3
	v_fmac_f32_e32 v12, v151, v2
	v_mul_f32_e32 v2, v152, v2
	v_fma_f32 v2, v151, v3, -v2
	v_addc_co_u32_e32 v11, vcc, v13, v19, vcc
	v_cvt_f64_f32_e32 v[12:13], v12
	v_cvt_f64_f32_e32 v[2:3], v2
	global_store_dwordx2 v[10:11], v[8:9], off
	v_cvt_f32_f64_e32 v0, v[0:1]
	v_mul_f64 v[8:9], v[12:13], s[4:5]
	v_mul_f64 v[2:3], v[2:3], s[4:5]
	v_cvt_f32_f64_e32 v1, v[4:5]
	v_add_co_u32_e32 v4, vcc, s2, v10
	v_addc_co_u32_e32 v5, vcc, v11, v18, vcc
	global_store_dwordx2 v[4:5], v[0:1], off
	v_mul_f32_e32 v0, v133, v7
	v_fmac_f32_e32 v0, v132, v6
	v_cvt_f64_f32_e32 v[10:11], v0
	v_mul_f32_e32 v0, v133, v6
	v_fma_f32 v0, v132, v7, -v0
	v_cvt_f32_f64_e32 v8, v[8:9]
	v_cvt_f32_f64_e32 v9, v[2:3]
	v_cvt_f64_f32_e32 v[6:7], v0
	ds_read2_b64 v[0:3], v78 offset0:80 offset1:136
	v_add_co_u32_e32 v12, vcc, s6, v4
	v_addc_co_u32_e32 v13, vcc, v5, v19, vcc
	global_store_dwordx2 v[12:13], v[8:9], off
	s_waitcnt lgkmcnt(0)
	v_mul_f32_e32 v8, v137, v1
	v_fmac_f32_e32 v8, v136, v0
	v_mul_f32_e32 v0, v137, v0
	v_mul_f64 v[4:5], v[10:11], s[4:5]
	v_mul_f64 v[6:7], v[6:7], s[4:5]
	v_fma_f32 v0, v136, v1, -v0
	v_cvt_f64_f32_e32 v[8:9], v8
	v_cvt_f64_f32_e32 v[0:1], v0
	v_add_co_u32_e32 v12, vcc, s2, v12
	v_mul_f64 v[8:9], v[8:9], s[4:5]
	v_mul_f64 v[0:1], v[0:1], s[4:5]
	v_cvt_f32_f64_e32 v10, v[4:5]
	v_cvt_f32_f64_e32 v11, v[6:7]
	ds_read2_b64 v[4:7], v79 offset0:156 offset1:212
	v_addc_co_u32_e32 v13, vcc, v13, v18, vcc
	global_store_dwordx2 v[12:13], v[10:11], off
	v_cvt_f32_f64_e32 v8, v[8:9]
	v_cvt_f32_f64_e32 v9, v[0:1]
	s_waitcnt lgkmcnt(0)
	v_mul_f32_e32 v0, v139, v5
	v_fmac_f32_e32 v0, v138, v4
	v_mul_f32_e32 v4, v139, v4
	v_fma_f32 v4, v138, v5, -v4
	v_cvt_f64_f32_e32 v[0:1], v0
	v_cvt_f64_f32_e32 v[4:5], v4
	v_add_co_u32_e32 v10, vcc, s6, v12
	v_mul_f64 v[0:1], v[0:1], s[4:5]
	v_mul_f64 v[4:5], v[4:5], s[4:5]
	v_mul_f32_e32 v12, v127, v3
	v_fmac_f32_e32 v12, v126, v2
	v_mul_f32_e32 v2, v127, v2
	v_fma_f32 v2, v126, v3, -v2
	v_addc_co_u32_e32 v11, vcc, v13, v19, vcc
	v_cvt_f64_f32_e32 v[12:13], v12
	v_cvt_f64_f32_e32 v[2:3], v2
	global_store_dwordx2 v[10:11], v[8:9], off
	v_cvt_f32_f64_e32 v0, v[0:1]
	v_mul_f64 v[8:9], v[12:13], s[4:5]
	v_mul_f64 v[2:3], v[2:3], s[4:5]
	v_cvt_f32_f64_e32 v1, v[4:5]
	v_add_co_u32_e32 v4, vcc, s2, v10
	v_addc_co_u32_e32 v5, vcc, v11, v18, vcc
	global_store_dwordx2 v[4:5], v[0:1], off
	v_mul_f32_e32 v0, v131, v7
	v_fmac_f32_e32 v0, v130, v6
	v_cvt_f64_f32_e32 v[10:11], v0
	v_mul_f32_e32 v0, v131, v6
	v_fma_f32 v0, v130, v7, -v0
	v_cvt_f32_f64_e32 v8, v[8:9]
	v_cvt_f32_f64_e32 v9, v[2:3]
	v_cvt_f64_f32_e32 v[6:7], v0
	ds_read2_b64 v[0:3], v78 offset0:192 offset1:248
	v_add_co_u32_e32 v4, vcc, s6, v4
	v_addc_co_u32_e32 v5, vcc, v5, v19, vcc
	global_store_dwordx2 v[4:5], v[8:9], off
	v_mul_f64 v[8:9], v[10:11], s[4:5]
	s_waitcnt lgkmcnt(0)
	v_mul_f32_e32 v10, v129, v1
	v_fmac_f32_e32 v10, v128, v0
	v_mul_f64 v[6:7], v[6:7], s[4:5]
	v_cvt_f64_f32_e32 v[10:11], v10
	v_mul_f32_e32 v0, v129, v0
	v_fma_f32 v0, v128, v1, -v0
	v_cvt_f64_f32_e32 v[0:1], v0
	v_mul_f64 v[10:11], v[10:11], s[4:5]
	v_cvt_f32_f64_e32 v8, v[8:9]
	v_add_co_u32_e32 v12, vcc, s2, v4
	v_cvt_f32_f64_e32 v9, v[6:7]
	v_mul_f64 v[0:1], v[0:1], s[4:5]
	v_addc_co_u32_e32 v13, vcc, v5, v18, vcc
	global_store_dwordx2 v[12:13], v[8:9], off
	v_cvt_f32_f64_e32 v8, v[10:11]
	v_mad_u64_u32 v[10:11], s[10:11], s8, v168, 0
	v_add_u32_e32 v4, 0x2000, v167
	ds_read2_b64 v[4:7], v4 offset0:12 offset1:68
	v_cvt_f32_f64_e32 v9, v[0:1]
	v_mov_b32_e32 v0, v11
	v_mad_u64_u32 v[0:1], s[10:11], s9, v168, v[0:1]
	s_waitcnt lgkmcnt(0)
	v_mul_f32_e32 v1, v125, v5
	v_fmac_f32_e32 v1, v124, v4
	v_cvt_f64_f32_e32 v[14:15], v1
	v_mul_f32_e32 v1, v125, v4
	v_fma_f32 v1, v124, v5, -v1
	v_mov_b32_e32 v11, v0
	v_cvt_f64_f32_e32 v[4:5], v1
	v_lshlrev_b64 v[0:1], 3, v[10:11]
	v_mul_f64 v[10:11], v[14:15], s[4:5]
	v_add_co_u32_e32 v0, vcc, v16, v0
	v_addc_co_u32_e32 v1, vcc, v17, v1, vcc
	v_mul_f64 v[4:5], v[4:5], s[4:5]
	global_store_dwordx2 v[0:1], v[8:9], off
	v_mul_f32_e32 v8, v123, v3
	v_fmac_f32_e32 v8, v122, v2
	v_cvt_f64_f32_e32 v[8:9], v8
	v_mul_f32_e32 v2, v123, v2
	v_cvt_f32_f64_e32 v0, v[10:11]
	v_fma_f32 v2, v122, v3, -v2
	v_mul_f64 v[8:9], v[8:9], s[4:5]
	v_mul_f32_e32 v10, v121, v7
	v_cvt_f32_f64_e32 v1, v[4:5]
	v_mov_b32_e32 v4, 0x1c0
	v_cvt_f64_f32_e32 v[2:3], v2
	v_fmac_f32_e32 v10, v120, v6
	v_mul_f32_e32 v6, v121, v6
	v_mad_u64_u32 v[4:5], s[12:13], s8, v4, v[12:13]
	v_fma_f32 v6, v120, v7, -v6
	v_cvt_f64_f32_e32 v[10:11], v10
	v_cvt_f64_f32_e32 v[6:7], v6
	s_mul_i32 s8, s9, 0x1c0
	v_mul_f64 v[2:3], v[2:3], s[4:5]
	v_add_u32_e32 v5, s8, v5
	global_store_dwordx2 v[4:5], v[0:1], off
	v_cvt_f32_f64_e32 v0, v[8:9]
	v_mul_f64 v[8:9], v[10:11], s[4:5]
	v_mul_f64 v[6:7], v[6:7], s[4:5]
	s_movk_i32 s10, 0x2000
	v_cvt_f32_f64_e32 v1, v[2:3]
	v_add_co_u32_e32 v2, vcc, s6, v4
	v_addc_co_u32_e32 v3, vcc, v5, v19, vcc
	v_cvt_f32_f64_e32 v4, v[8:9]
	v_cvt_f32_f64_e32 v5, v[6:7]
	global_store_dwordx2 v[2:3], v[0:1], off
	v_add_co_u32_e32 v0, vcc, s2, v2
	v_addc_co_u32_e32 v1, vcc, v3, v18, vcc
	global_store_dwordx2 v[0:1], v[4:5], off
	s_and_b64 exec, exec, s[0:1]
	s_cbranch_execz .LBB0_31
; %bb.30:
	v_add_co_u32_e32 v2, vcc, 0x1000, v165
	v_addc_co_u32_e32 v3, vcc, 0, v166, vcc
	global_load_dwordx2 v[2:3], v[2:3], off offset:384
	ds_read_b64 v[4:5], v167 offset:4480
	ds_read_b64 v[6:7], v167 offset:9184
	v_mov_b32_e32 v10, s7
	s_waitcnt vmcnt(0) lgkmcnt(1)
	v_mul_f32_e32 v8, v5, v3
	v_mul_f32_e32 v3, v4, v3
	v_fmac_f32_e32 v8, v4, v2
	v_fma_f32 v4, v2, v5, -v3
	v_cvt_f64_f32_e32 v[2:3], v8
	v_cvt_f64_f32_e32 v[4:5], v4
	v_add_co_u32_e32 v8, vcc, s10, v165
	v_mul_f64 v[2:3], v[2:3], s[4:5]
	v_mul_f64 v[4:5], v[4:5], s[4:5]
	v_addc_co_u32_e32 v9, vcc, 0, v166, vcc
	v_add_co_u32_e32 v0, vcc, s6, v0
	v_addc_co_u32_e32 v1, vcc, v1, v10, vcc
	v_cvt_f32_f64_e32 v2, v[2:3]
	v_cvt_f32_f64_e32 v3, v[4:5]
	global_store_dwordx2 v[0:1], v[2:3], off
	global_load_dwordx2 v[2:3], v[8:9], off offset:992
	v_add_co_u32_e32 v0, vcc, s2, v0
	s_waitcnt vmcnt(0) lgkmcnt(0)
	v_mul_f32_e32 v4, v7, v3
	v_mul_f32_e32 v3, v6, v3
	v_fmac_f32_e32 v4, v6, v2
	v_fma_f32 v5, v2, v7, -v3
	v_cvt_f64_f32_e32 v[2:3], v4
	v_cvt_f64_f32_e32 v[4:5], v5
	v_mov_b32_e32 v6, s3
	v_addc_co_u32_e32 v1, vcc, v1, v6, vcc
	v_mul_f64 v[2:3], v[2:3], s[4:5]
	v_mul_f64 v[4:5], v[4:5], s[4:5]
	v_cvt_f32_f64_e32 v2, v[2:3]
	v_cvt_f32_f64_e32 v3, v[4:5]
	global_store_dwordx2 v[0:1], v[2:3], off
.LBB0_31:
	s_endpgm
	.section	.rodata,"a",@progbits
	.p2align	6, 0x0
	.amdhsa_kernel bluestein_single_fwd_len1176_dim1_sp_op_CI_CI
		.amdhsa_group_segment_fixed_size 9408
		.amdhsa_private_segment_fixed_size 0
		.amdhsa_kernarg_size 104
		.amdhsa_user_sgpr_count 6
		.amdhsa_user_sgpr_private_segment_buffer 1
		.amdhsa_user_sgpr_dispatch_ptr 0
		.amdhsa_user_sgpr_queue_ptr 0
		.amdhsa_user_sgpr_kernarg_segment_ptr 1
		.amdhsa_user_sgpr_dispatch_id 0
		.amdhsa_user_sgpr_flat_scratch_init 0
		.amdhsa_user_sgpr_private_segment_size 0
		.amdhsa_uses_dynamic_stack 0
		.amdhsa_system_sgpr_private_segment_wavefront_offset 0
		.amdhsa_system_sgpr_workgroup_id_x 1
		.amdhsa_system_sgpr_workgroup_id_y 0
		.amdhsa_system_sgpr_workgroup_id_z 0
		.amdhsa_system_sgpr_workgroup_info 0
		.amdhsa_system_vgpr_workitem_id 0
		.amdhsa_next_free_vgpr 231
		.amdhsa_next_free_sgpr 18
		.amdhsa_reserve_vcc 1
		.amdhsa_reserve_flat_scratch 0
		.amdhsa_float_round_mode_32 0
		.amdhsa_float_round_mode_16_64 0
		.amdhsa_float_denorm_mode_32 3
		.amdhsa_float_denorm_mode_16_64 3
		.amdhsa_dx10_clamp 1
		.amdhsa_ieee_mode 1
		.amdhsa_fp16_overflow 0
		.amdhsa_exception_fp_ieee_invalid_op 0
		.amdhsa_exception_fp_denorm_src 0
		.amdhsa_exception_fp_ieee_div_zero 0
		.amdhsa_exception_fp_ieee_overflow 0
		.amdhsa_exception_fp_ieee_underflow 0
		.amdhsa_exception_fp_ieee_inexact 0
		.amdhsa_exception_int_div_zero 0
	.end_amdhsa_kernel
	.text
.Lfunc_end0:
	.size	bluestein_single_fwd_len1176_dim1_sp_op_CI_CI, .Lfunc_end0-bluestein_single_fwd_len1176_dim1_sp_op_CI_CI
                                        ; -- End function
	.section	.AMDGPU.csdata,"",@progbits
; Kernel info:
; codeLenInByte = 19752
; NumSgprs: 22
; NumVgprs: 231
; ScratchSize: 0
; MemoryBound: 0
; FloatMode: 240
; IeeeMode: 1
; LDSByteSize: 9408 bytes/workgroup (compile time only)
; SGPRBlocks: 2
; VGPRBlocks: 57
; NumSGPRsForWavesPerEU: 22
; NumVGPRsForWavesPerEU: 231
; Occupancy: 1
; WaveLimiterHint : 1
; COMPUTE_PGM_RSRC2:SCRATCH_EN: 0
; COMPUTE_PGM_RSRC2:USER_SGPR: 6
; COMPUTE_PGM_RSRC2:TRAP_HANDLER: 0
; COMPUTE_PGM_RSRC2:TGID_X_EN: 1
; COMPUTE_PGM_RSRC2:TGID_Y_EN: 0
; COMPUTE_PGM_RSRC2:TGID_Z_EN: 0
; COMPUTE_PGM_RSRC2:TIDIG_COMP_CNT: 0
	.type	__hip_cuid_d791431d7eb56290,@object ; @__hip_cuid_d791431d7eb56290
	.section	.bss,"aw",@nobits
	.globl	__hip_cuid_d791431d7eb56290
__hip_cuid_d791431d7eb56290:
	.byte	0                               ; 0x0
	.size	__hip_cuid_d791431d7eb56290, 1

	.ident	"AMD clang version 19.0.0git (https://github.com/RadeonOpenCompute/llvm-project roc-6.4.0 25133 c7fe45cf4b819c5991fe208aaa96edf142730f1d)"
	.section	".note.GNU-stack","",@progbits
	.addrsig
	.addrsig_sym __hip_cuid_d791431d7eb56290
	.amdgpu_metadata
---
amdhsa.kernels:
  - .args:
      - .actual_access:  read_only
        .address_space:  global
        .offset:         0
        .size:           8
        .value_kind:     global_buffer
      - .actual_access:  read_only
        .address_space:  global
        .offset:         8
        .size:           8
        .value_kind:     global_buffer
      - .actual_access:  read_only
        .address_space:  global
        .offset:         16
        .size:           8
        .value_kind:     global_buffer
      - .actual_access:  read_only
        .address_space:  global
        .offset:         24
        .size:           8
        .value_kind:     global_buffer
      - .actual_access:  read_only
        .address_space:  global
        .offset:         32
        .size:           8
        .value_kind:     global_buffer
      - .offset:         40
        .size:           8
        .value_kind:     by_value
      - .address_space:  global
        .offset:         48
        .size:           8
        .value_kind:     global_buffer
      - .address_space:  global
        .offset:         56
        .size:           8
        .value_kind:     global_buffer
      - .address_space:  global
        .offset:         64
        .size:           8
        .value_kind:     global_buffer
      - .address_space:  global
        .offset:         72
        .size:           8
        .value_kind:     global_buffer
      - .offset:         80
        .size:           4
        .value_kind:     by_value
      - .address_space:  global
        .offset:         88
        .size:           8
        .value_kind:     global_buffer
      - .address_space:  global
        .offset:         96
        .size:           8
        .value_kind:     global_buffer
    .group_segment_fixed_size: 9408
    .kernarg_segment_align: 8
    .kernarg_segment_size: 104
    .language:       OpenCL C
    .language_version:
      - 2
      - 0
    .max_flat_workgroup_size: 56
    .name:           bluestein_single_fwd_len1176_dim1_sp_op_CI_CI
    .private_segment_fixed_size: 0
    .sgpr_count:     22
    .sgpr_spill_count: 0
    .symbol:         bluestein_single_fwd_len1176_dim1_sp_op_CI_CI.kd
    .uniform_work_group_size: 1
    .uses_dynamic_stack: false
    .vgpr_count:     231
    .vgpr_spill_count: 0
    .wavefront_size: 64
amdhsa.target:   amdgcn-amd-amdhsa--gfx906
amdhsa.version:
  - 1
  - 2
...

	.end_amdgpu_metadata
